;; amdgpu-corpus repo=ROCm/rocFFT kind=compiled arch=gfx1030 opt=O3
	.text
	.amdgcn_target "amdgcn-amd-amdhsa--gfx1030"
	.amdhsa_code_object_version 6
	.protected	fft_rtc_back_len1700_factors_17_10_10_wgs_170_tpt_170_halfLds_dp_ip_CI_unitstride_sbrr_R2C_dirReg ; -- Begin function fft_rtc_back_len1700_factors_17_10_10_wgs_170_tpt_170_halfLds_dp_ip_CI_unitstride_sbrr_R2C_dirReg
	.globl	fft_rtc_back_len1700_factors_17_10_10_wgs_170_tpt_170_halfLds_dp_ip_CI_unitstride_sbrr_R2C_dirReg
	.p2align	8
	.type	fft_rtc_back_len1700_factors_17_10_10_wgs_170_tpt_170_halfLds_dp_ip_CI_unitstride_sbrr_R2C_dirReg,@function
fft_rtc_back_len1700_factors_17_10_10_wgs_170_tpt_170_halfLds_dp_ip_CI_unitstride_sbrr_R2C_dirReg: ; @fft_rtc_back_len1700_factors_17_10_10_wgs_170_tpt_170_halfLds_dp_ip_CI_unitstride_sbrr_R2C_dirReg
; %bb.0:
	s_clause 0x2
	s_load_dwordx4 s[8:11], s[4:5], 0x0
	s_load_dwordx2 s[2:3], s[4:5], 0x50
	s_load_dwordx2 s[12:13], s[4:5], 0x18
	v_mul_u32_u24_e32 v1, 0x182, v0
	v_mov_b32_e32 v3, 0
	v_add_nc_u32_sdwa v5, s6, v1 dst_sel:DWORD dst_unused:UNUSED_PAD src0_sel:DWORD src1_sel:WORD_1
	v_mov_b32_e32 v1, 0
	v_mov_b32_e32 v6, v3
	v_mov_b32_e32 v2, 0
	s_waitcnt lgkmcnt(0)
	v_cmp_lt_u64_e64 s0, s[10:11], 2
	s_and_b32 vcc_lo, exec_lo, s0
	s_cbranch_vccnz .LBB0_8
; %bb.1:
	s_load_dwordx2 s[0:1], s[4:5], 0x10
	v_mov_b32_e32 v1, 0
	s_add_u32 s6, s12, 8
	v_mov_b32_e32 v2, 0
	s_addc_u32 s7, s13, 0
	s_mov_b64 s[16:17], 1
	s_waitcnt lgkmcnt(0)
	s_add_u32 s14, s0, 8
	s_addc_u32 s15, s1, 0
.LBB0_2:                                ; =>This Inner Loop Header: Depth=1
	s_load_dwordx2 s[18:19], s[14:15], 0x0
                                        ; implicit-def: $vgpr7_vgpr8
	s_mov_b32 s0, exec_lo
	s_waitcnt lgkmcnt(0)
	v_or_b32_e32 v4, s19, v6
	v_cmpx_ne_u64_e32 0, v[3:4]
	s_xor_b32 s1, exec_lo, s0
	s_cbranch_execz .LBB0_4
; %bb.3:                                ;   in Loop: Header=BB0_2 Depth=1
	v_cvt_f32_u32_e32 v4, s18
	v_cvt_f32_u32_e32 v7, s19
	s_sub_u32 s0, 0, s18
	s_subb_u32 s20, 0, s19
	v_fmac_f32_e32 v4, 0x4f800000, v7
	v_rcp_f32_e32 v4, v4
	v_mul_f32_e32 v4, 0x5f7ffffc, v4
	v_mul_f32_e32 v7, 0x2f800000, v4
	v_trunc_f32_e32 v7, v7
	v_fmac_f32_e32 v4, 0xcf800000, v7
	v_cvt_u32_f32_e32 v7, v7
	v_cvt_u32_f32_e32 v4, v4
	v_mul_lo_u32 v8, s0, v7
	v_mul_hi_u32 v9, s0, v4
	v_mul_lo_u32 v10, s20, v4
	v_add_nc_u32_e32 v8, v9, v8
	v_mul_lo_u32 v9, s0, v4
	v_add_nc_u32_e32 v8, v8, v10
	v_mul_hi_u32 v10, v4, v9
	v_mul_lo_u32 v11, v4, v8
	v_mul_hi_u32 v12, v4, v8
	v_mul_hi_u32 v13, v7, v9
	v_mul_lo_u32 v9, v7, v9
	v_mul_hi_u32 v14, v7, v8
	v_mul_lo_u32 v8, v7, v8
	v_add_co_u32 v10, vcc_lo, v10, v11
	v_add_co_ci_u32_e32 v11, vcc_lo, 0, v12, vcc_lo
	v_add_co_u32 v9, vcc_lo, v10, v9
	v_add_co_ci_u32_e32 v9, vcc_lo, v11, v13, vcc_lo
	v_add_co_ci_u32_e32 v10, vcc_lo, 0, v14, vcc_lo
	v_add_co_u32 v8, vcc_lo, v9, v8
	v_add_co_ci_u32_e32 v9, vcc_lo, 0, v10, vcc_lo
	v_add_co_u32 v4, vcc_lo, v4, v8
	v_add_co_ci_u32_e32 v7, vcc_lo, v7, v9, vcc_lo
	v_mul_hi_u32 v8, s0, v4
	v_mul_lo_u32 v10, s20, v4
	v_mul_lo_u32 v9, s0, v7
	v_add_nc_u32_e32 v8, v8, v9
	v_mul_lo_u32 v9, s0, v4
	v_add_nc_u32_e32 v8, v8, v10
	v_mul_hi_u32 v10, v4, v9
	v_mul_lo_u32 v11, v4, v8
	v_mul_hi_u32 v12, v4, v8
	v_mul_hi_u32 v13, v7, v9
	v_mul_lo_u32 v9, v7, v9
	v_mul_hi_u32 v14, v7, v8
	v_mul_lo_u32 v8, v7, v8
	v_add_co_u32 v10, vcc_lo, v10, v11
	v_add_co_ci_u32_e32 v11, vcc_lo, 0, v12, vcc_lo
	v_add_co_u32 v9, vcc_lo, v10, v9
	v_add_co_ci_u32_e32 v9, vcc_lo, v11, v13, vcc_lo
	v_add_co_ci_u32_e32 v10, vcc_lo, 0, v14, vcc_lo
	v_add_co_u32 v8, vcc_lo, v9, v8
	v_add_co_ci_u32_e32 v9, vcc_lo, 0, v10, vcc_lo
	v_add_co_u32 v4, vcc_lo, v4, v8
	v_add_co_ci_u32_e32 v11, vcc_lo, v7, v9, vcc_lo
	v_mul_hi_u32 v13, v5, v4
	v_mad_u64_u32 v[9:10], null, v6, v4, 0
	v_mad_u64_u32 v[7:8], null, v5, v11, 0
	;; [unrolled: 1-line block ×3, first 2 shown]
	v_add_co_u32 v4, vcc_lo, v13, v7
	v_add_co_ci_u32_e32 v7, vcc_lo, 0, v8, vcc_lo
	v_add_co_u32 v4, vcc_lo, v4, v9
	v_add_co_ci_u32_e32 v4, vcc_lo, v7, v10, vcc_lo
	v_add_co_ci_u32_e32 v7, vcc_lo, 0, v12, vcc_lo
	v_add_co_u32 v4, vcc_lo, v4, v11
	v_add_co_ci_u32_e32 v9, vcc_lo, 0, v7, vcc_lo
	v_mul_lo_u32 v10, s19, v4
	v_mad_u64_u32 v[7:8], null, s18, v4, 0
	v_mul_lo_u32 v11, s18, v9
	v_sub_co_u32 v7, vcc_lo, v5, v7
	v_add3_u32 v8, v8, v11, v10
	v_sub_nc_u32_e32 v10, v6, v8
	v_subrev_co_ci_u32_e64 v10, s0, s19, v10, vcc_lo
	v_add_co_u32 v11, s0, v4, 2
	v_add_co_ci_u32_e64 v12, s0, 0, v9, s0
	v_sub_co_u32 v13, s0, v7, s18
	v_sub_co_ci_u32_e32 v8, vcc_lo, v6, v8, vcc_lo
	v_subrev_co_ci_u32_e64 v10, s0, 0, v10, s0
	v_cmp_le_u32_e32 vcc_lo, s18, v13
	v_cmp_eq_u32_e64 s0, s19, v8
	v_cndmask_b32_e64 v13, 0, -1, vcc_lo
	v_cmp_le_u32_e32 vcc_lo, s19, v10
	v_cndmask_b32_e64 v14, 0, -1, vcc_lo
	v_cmp_le_u32_e32 vcc_lo, s18, v7
	;; [unrolled: 2-line block ×3, first 2 shown]
	v_cndmask_b32_e64 v15, 0, -1, vcc_lo
	v_cmp_eq_u32_e32 vcc_lo, s19, v10
	v_cndmask_b32_e64 v7, v15, v7, s0
	v_cndmask_b32_e32 v10, v14, v13, vcc_lo
	v_add_co_u32 v13, vcc_lo, v4, 1
	v_add_co_ci_u32_e32 v14, vcc_lo, 0, v9, vcc_lo
	v_cmp_ne_u32_e32 vcc_lo, 0, v10
	v_cndmask_b32_e32 v8, v14, v12, vcc_lo
	v_cndmask_b32_e32 v10, v13, v11, vcc_lo
	v_cmp_ne_u32_e32 vcc_lo, 0, v7
	v_cndmask_b32_e32 v8, v9, v8, vcc_lo
	v_cndmask_b32_e32 v7, v4, v10, vcc_lo
.LBB0_4:                                ;   in Loop: Header=BB0_2 Depth=1
	s_andn2_saveexec_b32 s0, s1
	s_cbranch_execz .LBB0_6
; %bb.5:                                ;   in Loop: Header=BB0_2 Depth=1
	v_cvt_f32_u32_e32 v4, s18
	s_sub_i32 s1, 0, s18
	v_rcp_iflag_f32_e32 v4, v4
	v_mul_f32_e32 v4, 0x4f7ffffe, v4
	v_cvt_u32_f32_e32 v4, v4
	v_mul_lo_u32 v7, s1, v4
	v_mul_hi_u32 v7, v4, v7
	v_add_nc_u32_e32 v4, v4, v7
	v_mul_hi_u32 v4, v5, v4
	v_mul_lo_u32 v7, v4, s18
	v_add_nc_u32_e32 v8, 1, v4
	v_sub_nc_u32_e32 v7, v5, v7
	v_subrev_nc_u32_e32 v9, s18, v7
	v_cmp_le_u32_e32 vcc_lo, s18, v7
	v_cndmask_b32_e32 v7, v7, v9, vcc_lo
	v_cndmask_b32_e32 v4, v4, v8, vcc_lo
	v_cmp_le_u32_e32 vcc_lo, s18, v7
	v_add_nc_u32_e32 v8, 1, v4
	v_cndmask_b32_e32 v7, v4, v8, vcc_lo
	v_mov_b32_e32 v8, v3
.LBB0_6:                                ;   in Loop: Header=BB0_2 Depth=1
	s_or_b32 exec_lo, exec_lo, s0
	s_load_dwordx2 s[0:1], s[6:7], 0x0
	v_mul_lo_u32 v4, v8, s18
	v_mul_lo_u32 v11, v7, s19
	v_mad_u64_u32 v[9:10], null, v7, s18, 0
	s_add_u32 s16, s16, 1
	s_addc_u32 s17, s17, 0
	s_add_u32 s6, s6, 8
	s_addc_u32 s7, s7, 0
	;; [unrolled: 2-line block ×3, first 2 shown]
	v_add3_u32 v4, v10, v11, v4
	v_sub_co_u32 v5, vcc_lo, v5, v9
	v_sub_co_ci_u32_e32 v4, vcc_lo, v6, v4, vcc_lo
	s_waitcnt lgkmcnt(0)
	v_mul_lo_u32 v6, s1, v5
	v_mul_lo_u32 v4, s0, v4
	v_mad_u64_u32 v[1:2], null, s0, v5, v[1:2]
	v_cmp_ge_u64_e64 s0, s[16:17], s[10:11]
	s_and_b32 vcc_lo, exec_lo, s0
	v_add3_u32 v2, v6, v2, v4
	s_cbranch_vccnz .LBB0_9
; %bb.7:                                ;   in Loop: Header=BB0_2 Depth=1
	v_mov_b32_e32 v5, v7
	v_mov_b32_e32 v6, v8
	s_branch .LBB0_2
.LBB0_8:
	v_mov_b32_e32 v8, v6
	v_mov_b32_e32 v7, v5
.LBB0_9:
	s_lshl_b64 s[0:1], s[10:11], 3
	v_mul_hi_u32 v3, 0x1818182, v0
	s_add_u32 s0, s12, s0
	s_addc_u32 s1, s13, s1
	s_load_dwordx2 s[0:1], s[0:1], 0x0
	s_load_dwordx2 s[4:5], s[4:5], 0x20
	v_mul_u32_u24_e32 v3, 0xaa, v3
	v_sub_nc_u32_e32 v68, v0, v3
	v_lshl_add_u32 v104, v68, 4, 0
	s_waitcnt lgkmcnt(0)
	v_mul_lo_u32 v4, s0, v8
	v_mul_lo_u32 v5, s1, v7
	v_mad_u64_u32 v[1:2], null, s0, v7, v[1:2]
	v_cmp_gt_u64_e32 vcc_lo, s[4:5], v[7:8]
	v_add3_u32 v2, v5, v2, v4
	v_lshlrev_b64 v[70:71], 4, v[1:2]
	s_and_saveexec_b32 s1, vcc_lo
	s_cbranch_execz .LBB0_11
; %bb.10:
	v_mov_b32_e32 v69, 0
	v_add_co_u32 v2, s0, s2, v70
	v_add_co_ci_u32_e64 v3, s0, s3, v71, s0
	v_lshlrev_b64 v[0:1], 4, v[68:69]
	v_add_co_u32 v16, s0, v2, v0
	v_add_co_ci_u32_e64 v17, s0, v3, v1, s0
	v_add_co_u32 v4, s0, 0x800, v16
	v_add_co_ci_u32_e64 v5, s0, 0, v17, s0
	;; [unrolled: 2-line block ×10, first 2 shown]
	s_clause 0x9
	global_load_dwordx4 v[0:3], v[16:17], off
	global_load_dwordx4 v[4:7], v[4:5], off offset:672
	global_load_dwordx4 v[8:11], v[8:9], off offset:1344
	;; [unrolled: 1-line block ×9, first 2 shown]
	s_waitcnt vmcnt(9)
	ds_write_b128 v104, v[0:3]
	s_waitcnt vmcnt(8)
	ds_write_b128 v104, v[4:7] offset:2720
	s_waitcnt vmcnt(7)
	ds_write_b128 v104, v[8:11] offset:5440
	;; [unrolled: 2-line block ×9, first 2 shown]
.LBB0_11:
	s_or_b32 exec_lo, exec_lo, s1
	s_waitcnt lgkmcnt(0)
	s_barrier
	buffer_gl0_inv
	ds_read_b128 v[0:3], v104
	ds_read_b128 v[64:67], v104 offset:1600
	ds_read_b128 v[60:63], v104 offset:3200
	;; [unrolled: 1-line block ×16, first 2 shown]
	s_mov_b32 s33, exec_lo
	s_waitcnt lgkmcnt(0)
	s_barrier
	buffer_gl0_inv
	v_cmpx_gt_u32_e32 0x64, v68
	s_cbranch_execz .LBB0_13
; %bb.12:
	v_add_f64 v[72:73], v[2:3], v[66:67]
	v_add_f64 v[74:75], v[0:1], v[64:65]
	v_add_f64 v[102:103], v[64:65], -v[4:5]
	v_add_f64 v[100:101], v[66:67], -v[6:7]
	s_mov_b32 s4, 0xacd6c6b4
	s_mov_b32 s5, 0xbfc7851a
	v_add_f64 v[94:95], v[60:61], -v[8:9]
	v_add_f64 v[90:91], v[62:63], -v[10:11]
	v_add_f64 v[96:97], v[66:67], v[6:7]
	v_add_f64 v[98:99], v[64:65], v[4:5]
	s_mov_b32 s10, 0x5d8e7cdc
	s_mov_b32 s0, 0x7faef3
	;; [unrolled: 1-line block ×4, first 2 shown]
	v_add_f64 v[92:93], v[56:57], -v[12:13]
	v_add_f64 v[86:87], v[58:59], -v[14:15]
	v_add_f64 v[66:67], v[62:63], v[10:11]
	s_mov_b32 s14, 0x4363dd80
	s_mov_b32 s6, 0x370991
	;; [unrolled: 1-line block ×4, first 2 shown]
	v_add_f64 v[88:89], v[52:53], -v[16:17]
	v_add_f64 v[72:73], v[72:73], v[62:63]
	v_add_f64 v[74:75], v[74:75], v[60:61]
	v_mul_f64 v[105:106], v[102:103], s[4:5]
	v_mul_f64 v[107:108], v[100:101], s[4:5]
	v_add_f64 v[60:61], v[60:61], v[8:9]
	v_add_f64 v[82:83], v[54:55], -v[18:19]
	v_mul_f64 v[109:110], v[94:95], s[10:11]
	v_mul_f64 v[111:112], v[90:91], s[10:11]
	v_add_f64 v[64:65], v[58:59], v[14:15]
	s_mov_b32 s26, 0x2a9d6da3
	s_mov_b32 s12, 0x910ea3b9
	;; [unrolled: 1-line block ×4, first 2 shown]
	v_add_f64 v[84:85], v[48:49], -v[20:21]
	v_mul_f64 v[113:114], v[92:93], s[14:15]
	v_mul_f64 v[115:116], v[86:87], s[14:15]
	v_add_f64 v[80:81], v[50:51], -v[22:23]
	s_mov_b32 s22, 0x6c9a05f6
	s_mov_b32 s16, 0x75d4884
	;; [unrolled: 1-line block ×4, first 2 shown]
	v_mul_f64 v[117:118], v[88:89], s[26:27]
	v_add_f64 v[72:73], v[72:73], v[58:59]
	v_add_f64 v[74:75], v[74:75], v[56:57]
	;; [unrolled: 1-line block ×3, first 2 shown]
	v_fma_f64 v[76:77], v[98:99], s[0:1], -v[107:108]
	s_mov_b32 s24, 0x7c9e640b
	v_mul_f64 v[119:120], v[82:83], s[26:27]
	s_mov_b32 s18, 0x6ed5f1bb
	v_fma_f64 v[78:79], v[60:61], s[6:7], -v[111:112]
	s_mov_b32 s25, 0x3feca52d
	s_mov_b32 s19, 0xbfe348c8
	;; [unrolled: 1-line block ×5, first 2 shown]
	v_mul_f64 v[125:126], v[84:85], s[22:23]
	v_fma_f64 v[121:122], v[64:65], s[12:13], v[113:114]
	s_mov_b32 s21, 0x3fdc86fa
	v_mul_f64 v[127:128], v[80:81], s[22:23]
	s_mov_b32 s48, 0xeb564b22
	s_mov_b32 s28, 0xc61f0d01
	;; [unrolled: 1-line block ×5, first 2 shown]
	v_add_f64 v[62:63], v[72:73], v[54:55]
	v_add_f64 v[72:73], v[74:75], v[52:53]
	v_fma_f64 v[74:75], v[96:97], s[0:1], v[105:106]
	v_add_f64 v[76:77], v[0:1], v[76:77]
	v_add_f64 v[54:55], v[54:55], v[18:19]
	;; [unrolled: 1-line block ×3, first 2 shown]
	v_fma_f64 v[123:124], v[56:57], s[12:13], -v[115:116]
	s_mov_b32 s35, 0x3fb79ee6
	v_fma_f64 v[105:106], v[96:97], s[0:1], -v[105:106]
	s_mov_b32 s37, 0xbfefdd0d
	s_mov_b32 s41, 0x3feec746
	;; [unrolled: 1-line block ×4, first 2 shown]
	v_mul_f64 v[151:152], v[100:101], s[22:23]
	v_mul_f64 v[153:154], v[92:93], s[36:37]
	v_mul_f64 v[155:156], v[94:95], s[40:41]
	v_mul_f64 v[157:158], v[86:87], s[36:37]
	v_fma_f64 v[111:112], v[60:61], s[6:7], v[111:112]
	s_mov_b32 s47, 0x3fe9895b
	s_mov_b32 s39, 0xbfd71e95
	;; [unrolled: 1-line block ×4, first 2 shown]
	v_add_f64 v[58:59], v[62:63], v[50:51]
	v_add_f64 v[62:63], v[72:73], v[48:49]
	v_fma_f64 v[72:73], v[66:67], s[6:7], v[109:110]
	v_add_f64 v[74:75], v[2:3], v[74:75]
	v_add_f64 v[50:51], v[50:51], v[22:23]
	;; [unrolled: 1-line block ×3, first 2 shown]
	v_fma_f64 v[129:130], v[54:55], s[16:17], v[117:118]
	v_fma_f64 v[131:132], v[52:53], s[16:17], -v[119:120]
	v_fma_f64 v[109:110], v[66:67], s[6:7], -v[109:110]
	v_add_f64 v[105:106], v[2:3], v[105:106]
	v_fma_f64 v[113:114], v[64:65], s[12:13], -v[113:114]
	v_fma_f64 v[115:116], v[56:57], s[12:13], v[115:116]
	v_fma_f64 v[117:118], v[54:55], s[16:17], -v[117:118]
	v_fma_f64 v[119:120], v[52:53], s[16:17], v[119:120]
	s_mov_b32 s45, 0x3fe0d888
	s_mov_b32 s44, s14
	;; [unrolled: 1-line block ×6, first 2 shown]
	v_add_f64 v[58:59], v[58:59], v[46:47]
	v_add_f64 v[62:63], v[62:63], v[44:45]
	v_add_f64 v[72:73], v[72:73], v[74:75]
	v_add_f64 v[74:75], v[78:79], v[76:77]
	v_add_f64 v[78:79], v[44:45], -v[24:25]
	v_add_f64 v[76:77], v[46:47], -v[26:27]
	v_add_f64 v[46:47], v[46:47], v[26:27]
	v_add_f64 v[44:45], v[44:45], v[24:25]
	v_fma_f64 v[141:142], v[50:51], s[18:19], v[125:126]
	v_fma_f64 v[143:144], v[48:49], s[18:19], -v[127:128]
	v_add_f64 v[105:106], v[109:110], v[105:106]
	v_mul_f64 v[109:110], v[90:91], s[40:41]
	v_fma_f64 v[125:126], v[50:51], s[18:19], -v[125:126]
	v_fma_f64 v[127:128], v[48:49], s[18:19], v[127:128]
	v_add_f64 v[58:59], v[58:59], v[42:43]
	v_add_f64 v[62:63], v[62:63], v[40:41]
	;; [unrolled: 1-line block ×4, first 2 shown]
	v_add_f64 v[74:75], v[40:41], -v[28:29]
	v_add_f64 v[72:73], v[42:43], -v[30:31]
	v_mul_f64 v[137:138], v[78:79], s[24:25]
	v_mul_f64 v[139:140], v[76:77], s[24:25]
	v_add_f64 v[42:43], v[42:43], v[30:31]
	v_add_f64 v[40:41], v[40:41], v[28:29]
	;; [unrolled: 1-line block ×3, first 2 shown]
	v_mul_f64 v[113:114], v[84:85], s[38:39]
	v_add_f64 v[133:134], v[58:59], v[34:35]
	v_add_f64 v[135:136], v[62:63], v[32:33]
	v_add_f64 v[62:63], v[32:33], -v[36:37]
	v_add_f64 v[121:122], v[129:130], v[121:122]
	v_add_f64 v[123:124], v[131:132], v[123:124]
	v_add_f64 v[58:59], v[34:35], -v[38:39]
	v_add_f64 v[34:35], v[34:35], v[38:39]
	v_fma_f64 v[145:146], v[46:47], s[20:21], v[137:138]
	v_fma_f64 v[147:148], v[44:45], s[20:21], -v[139:140]
	v_add_f64 v[32:33], v[32:33], v[36:37]
	v_fma_f64 v[137:138], v[46:47], s[20:21], -v[137:138]
	v_add_f64 v[105:106], v[117:118], v[105:106]
	v_mul_f64 v[117:118], v[76:77], s[4:5]
	v_fma_f64 v[139:140], v[44:45], s[20:21], v[139:140]
	v_add_f64 v[129:130], v[133:134], v[38:39]
	v_add_f64 v[131:132], v[135:136], v[36:37]
	v_mul_f64 v[133:134], v[74:75], s[30:31]
	v_mul_f64 v[135:136], v[72:73], s[30:31]
	v_add_f64 v[121:122], v[141:142], v[121:122]
	v_add_f64 v[123:124], v[143:144], v[123:124]
	v_mul_f64 v[143:144], v[100:101], s[14:15]
	v_add_f64 v[105:106], v[125:126], v[105:106]
	v_mul_f64 v[125:126], v[62:63], s[30:31]
	v_add_f64 v[36:37], v[129:130], v[30:31]
	v_add_f64 v[38:39], v[131:132], v[28:29]
	v_mul_f64 v[28:29], v[62:63], s[48:49]
	v_mul_f64 v[30:31], v[58:59], s[48:49]
	;; [unrolled: 1-line block ×3, first 2 shown]
	v_fma_f64 v[131:132], v[42:43], s[28:29], v[133:134]
	v_fma_f64 v[141:142], v[40:41], s[28:29], -v[135:136]
	v_add_f64 v[121:122], v[145:146], v[121:122]
	v_add_f64 v[123:124], v[147:148], v[123:124]
	v_fma_f64 v[149:150], v[98:99], s[12:13], -v[143:144]
	v_fma_f64 v[143:144], v[98:99], s[12:13], v[143:144]
	v_add_f64 v[105:106], v[137:138], v[105:106]
	v_fma_f64 v[133:134], v[42:43], s[28:29], -v[133:134]
	v_fma_f64 v[135:136], v[40:41], s[28:29], v[135:136]
	v_mul_f64 v[137:138], v[58:59], s[30:31]
	v_add_f64 v[26:27], v[36:37], v[26:27]
	v_add_f64 v[24:25], v[38:39], v[24:25]
	v_mul_f64 v[36:37], v[94:95], s[24:25]
	v_fma_f64 v[38:39], v[98:99], s[0:1], v[107:108]
	v_fma_f64 v[107:108], v[34:35], s[34:35], v[28:29]
	v_fma_f64 v[145:146], v[32:33], s[34:35], -v[30:31]
	v_fma_f64 v[147:148], v[96:97], s[12:13], v[129:130]
	v_add_f64 v[121:122], v[131:132], v[121:122]
	v_add_f64 v[123:124], v[141:142], v[123:124]
	v_mul_f64 v[131:132], v[102:103], s[22:23]
	v_mul_f64 v[141:142], v[90:91], s[24:25]
	v_fma_f64 v[129:130], v[96:97], s[12:13], -v[129:130]
	v_add_f64 v[143:144], v[0:1], v[143:144]
	v_add_f64 v[105:106], v[133:134], v[105:106]
	v_fma_f64 v[30:31], v[32:33], s[34:35], v[30:31]
	v_add_f64 v[26:27], v[26:27], v[22:23]
	v_add_f64 v[24:25], v[24:25], v[20:21]
	v_fma_f64 v[159:160], v[66:67], s[20:21], v[36:37]
	v_add_f64 v[38:39], v[0:1], v[38:39]
	v_fma_f64 v[36:37], v[66:67], s[20:21], -v[36:37]
	v_add_f64 v[147:148], v[2:3], v[147:148]
	v_add_f64 v[22:23], v[107:108], v[121:122]
	;; [unrolled: 1-line block ×3, first 2 shown]
	v_fma_f64 v[107:108], v[96:97], s[18:19], v[131:132]
	v_fma_f64 v[121:122], v[60:61], s[20:21], -v[141:142]
	v_add_f64 v[123:124], v[0:1], v[149:150]
	v_add_f64 v[129:130], v[2:3], v[129:130]
	v_fma_f64 v[141:142], v[60:61], s[20:21], v[141:142]
	v_fma_f64 v[131:132], v[96:97], s[18:19], -v[131:132]
	v_fma_f64 v[149:150], v[64:65], s[34:35], -v[153:154]
	v_add_f64 v[18:19], v[26:27], v[18:19]
	v_add_f64 v[16:17], v[24:25], v[16:17]
	v_mul_f64 v[24:25], v[88:89], s[46:47]
	v_mul_f64 v[26:27], v[92:93], s[38:39]
	v_add_f64 v[38:39], v[111:112], v[38:39]
	v_fma_f64 v[111:112], v[98:99], s[18:19], -v[151:152]
	v_add_f64 v[145:146], v[159:160], v[147:148]
	v_fma_f64 v[147:148], v[66:67], s[28:29], v[155:156]
	v_fma_f64 v[155:156], v[66:67], s[28:29], -v[155:156]
	v_add_f64 v[107:108], v[2:3], v[107:108]
	v_fma_f64 v[151:152], v[98:99], s[18:19], v[151:152]
	v_add_f64 v[121:122], v[121:122], v[123:124]
	v_fma_f64 v[123:124], v[64:65], s[34:35], v[153:154]
	v_add_f64 v[36:37], v[36:37], v[129:130]
	v_fma_f64 v[129:130], v[56:57], s[34:35], -v[157:158]
	v_add_f64 v[141:142], v[141:142], v[143:144]
	v_mul_f64 v[143:144], v[82:83], s[46:47]
	v_fma_f64 v[153:154], v[56:57], s[34:35], v[157:158]
	v_add_f64 v[131:132], v[2:3], v[131:132]
	v_fma_f64 v[157:158], v[34:35], s[34:35], -v[28:29]
	v_mul_f64 v[28:29], v[62:63], s[24:25]
	v_add_f64 v[14:15], v[18:19], v[14:15]
	v_add_f64 v[12:13], v[16:17], v[12:13]
	v_mul_f64 v[16:17], v[86:87], s[38:39]
	v_mul_f64 v[18:19], v[88:89], s[14:15]
	v_add_f64 v[38:39], v[115:116], v[38:39]
	v_fma_f64 v[115:116], v[60:61], s[28:29], -v[109:110]
	v_add_f64 v[111:112], v[0:1], v[111:112]
	v_fma_f64 v[109:110], v[60:61], s[28:29], v[109:110]
	v_add_f64 v[107:108], v[147:148], v[107:108]
	v_fma_f64 v[147:148], v[64:65], s[6:7], v[26:27]
	v_fma_f64 v[26:27], v[64:65], s[6:7], -v[26:27]
	v_add_f64 v[123:124], v[123:124], v[145:146]
	v_fma_f64 v[145:146], v[54:55], s[18:19], v[24:25]
	v_add_f64 v[121:122], v[129:130], v[121:122]
	v_add_f64 v[36:37], v[149:150], v[36:37]
	v_fma_f64 v[129:130], v[52:53], s[18:19], -v[143:144]
	v_mul_f64 v[149:150], v[80:81], s[38:39]
	v_fma_f64 v[24:25], v[54:55], s[18:19], -v[24:25]
	v_add_f64 v[141:142], v[153:154], v[141:142]
	v_mul_f64 v[153:154], v[78:79], s[4:5]
	v_fma_f64 v[143:144], v[52:53], s[18:19], v[143:144]
	v_add_f64 v[131:132], v[155:156], v[131:132]
	v_add_f64 v[151:152], v[0:1], v[151:152]
	v_fma_f64 v[155:156], v[56:57], s[6:7], -v[16:17]
	v_fma_f64 v[16:17], v[56:57], s[6:7], v[16:17]
	v_add_f64 v[38:39], v[119:120], v[38:39]
	v_mul_f64 v[119:120], v[82:83], s[14:15]
	v_add_f64 v[111:112], v[115:116], v[111:112]
	v_mul_f64 v[115:116], v[84:85], s[48:49]
	v_add_f64 v[159:160], v[14:15], v[10:11]
	v_add_f64 v[161:162], v[12:13], v[8:9]
	;; [unrolled: 1-line block ×3, first 2 shown]
	v_fma_f64 v[147:148], v[54:55], s[12:13], v[18:19]
	v_fma_f64 v[18:19], v[54:55], s[12:13], -v[18:19]
	v_add_f64 v[123:124], v[145:146], v[123:124]
	v_fma_f64 v[145:146], v[50:51], s[6:7], v[113:114]
	v_fma_f64 v[113:114], v[50:51], s[6:7], -v[113:114]
	v_add_f64 v[121:122], v[129:130], v[121:122]
	v_fma_f64 v[129:130], v[48:49], s[6:7], -v[149:150]
	v_add_f64 v[24:25], v[24:25], v[36:37]
	v_mul_f64 v[36:37], v[74:75], s[26:27]
	v_fma_f64 v[149:150], v[48:49], s[6:7], v[149:150]
	v_add_f64 v[141:142], v[143:144], v[141:142]
	v_mul_f64 v[143:144], v[72:73], s[26:27]
	v_add_f64 v[26:27], v[26:27], v[131:132]
	v_mul_f64 v[131:132], v[94:95], s[44:45]
	v_add_f64 v[109:110], v[109:110], v[151:152]
	v_add_f64 v[38:39], v[127:128], v[38:39]
	v_mul_f64 v[127:128], v[80:81], s[48:49]
	v_add_f64 v[111:112], v[155:156], v[111:112]
	v_fma_f64 v[155:156], v[52:53], s[12:13], -v[119:120]
	v_mul_f64 v[151:152], v[74:75], s[4:5]
	v_fma_f64 v[12:13], v[34:35], s[28:29], v[125:126]
	v_fma_f64 v[119:120], v[52:53], s[12:13], v[119:120]
	v_add_f64 v[107:108], v[147:148], v[107:108]
	v_mul_f64 v[147:148], v[102:103], s[30:31]
	v_add_f64 v[10:11], v[157:158], v[105:106]
	v_add_f64 v[123:124], v[145:146], v[123:124]
	v_fma_f64 v[145:146], v[50:51], s[34:35], v[115:116]
	v_mul_f64 v[105:106], v[102:103], s[36:37]
	v_add_f64 v[121:122], v[129:130], v[121:122]
	v_fma_f64 v[129:130], v[46:47], s[0:1], v[153:154]
	v_add_f64 v[24:25], v[113:114], v[24:25]
	v_fma_f64 v[113:114], v[44:45], s[0:1], -v[117:118]
	v_fma_f64 v[153:154], v[46:47], s[0:1], -v[153:154]
	v_add_f64 v[141:142], v[149:150], v[141:142]
	v_fma_f64 v[117:118], v[44:45], s[0:1], v[117:118]
	v_mul_f64 v[149:150], v[78:79], s[42:43]
	v_fma_f64 v[14:15], v[66:67], s[12:13], v[131:132]
	v_add_f64 v[38:39], v[139:140], v[38:39]
	v_mul_f64 v[139:140], v[76:77], s[42:43]
	v_fma_f64 v[133:134], v[48:49], s[34:35], -v[127:128]
	v_add_f64 v[111:112], v[155:156], v[111:112]
	v_mul_f64 v[155:156], v[100:101], s[30:31]
	v_add_f64 v[16:17], v[16:17], v[109:110]
	v_fma_f64 v[109:110], v[32:33], s[28:29], -v[137:138]
	v_add_f64 v[26:27], v[18:19], v[26:27]
	v_fma_f64 v[131:132], v[66:67], s[12:13], -v[131:132]
	v_fma_f64 v[125:126], v[34:35], s[28:29], -v[125:126]
	v_fma_f64 v[137:138], v[32:33], s[28:29], v[137:138]
	v_add_f64 v[107:108], v[145:146], v[107:108]
	v_fma_f64 v[145:146], v[96:97], s[28:29], v[147:148]
	v_add_f64 v[6:7], v[159:160], v[6:7]
	v_add_f64 v[123:124], v[129:130], v[123:124]
	v_fma_f64 v[129:130], v[42:43], s[16:17], v[36:37]
	v_add_f64 v[113:114], v[113:114], v[121:122]
	v_fma_f64 v[121:122], v[40:41], s[16:17], -v[143:144]
	v_add_f64 v[24:25], v[153:154], v[24:25]
	v_fma_f64 v[36:37], v[42:43], s[16:17], -v[36:37]
	v_add_f64 v[117:118], v[117:118], v[141:142]
	v_mul_f64 v[141:142], v[92:93], s[26:27]
	v_add_f64 v[38:39], v[135:136], v[38:39]
	v_fma_f64 v[143:144], v[40:41], s[16:17], v[143:144]
	v_mul_f64 v[153:154], v[72:73], s[4:5]
	v_fma_f64 v[135:136], v[46:47], s[16:17], v[149:150]
	v_add_f64 v[111:112], v[133:134], v[111:112]
	v_fma_f64 v[133:134], v[44:45], s[16:17], -v[139:140]
	v_fma_f64 v[18:19], v[98:99], s[28:29], v[155:156]
	v_mul_f64 v[157:158], v[100:101], s[36:37]
	v_mul_f64 v[159:160], v[84:85], s[4:5]
	v_fma_f64 v[115:116], v[50:51], s[34:35], -v[115:116]
	v_fma_f64 v[149:150], v[46:47], s[16:17], -v[149:150]
	v_add_f64 v[4:5], v[161:162], v[4:5]
	v_add_f64 v[145:146], v[2:3], v[145:146]
	;; [unrolled: 1-line block ×3, first 2 shown]
	v_mul_f64 v[129:130], v[90:91], s[44:45]
	v_add_f64 v[113:114], v[121:122], v[113:114]
	v_fma_f64 v[121:122], v[98:99], s[28:29], -v[155:156]
	v_add_f64 v[24:25], v[36:37], v[24:25]
	v_fma_f64 v[36:37], v[96:97], s[28:29], -v[147:148]
	v_mul_f64 v[155:156], v[86:87], s[26:27]
	v_add_f64 v[8:9], v[30:31], v[38:39]
	v_add_f64 v[38:39], v[143:144], v[117:118]
	v_fma_f64 v[143:144], v[64:65], s[16:17], v[141:142]
	v_add_f64 v[107:108], v[135:136], v[107:108]
	v_fma_f64 v[135:136], v[42:43], s[0:1], v[151:152]
	v_mul_f64 v[30:31], v[58:59], s[24:25]
	v_fma_f64 v[141:142], v[64:65], s[16:17], -v[141:142]
	v_fma_f64 v[151:152], v[42:43], s[0:1], -v[151:152]
	v_add_f64 v[115:116], v[115:116], v[26:27]
	v_add_f64 v[117:118], v[14:15], v[145:146]
	v_mul_f64 v[145:146], v[88:89], s[50:51]
	v_add_f64 v[14:15], v[12:13], v[123:124]
	v_fma_f64 v[147:148], v[60:61], s[12:13], -v[129:130]
	v_add_f64 v[12:13], v[109:110], v[113:114]
	v_add_f64 v[121:122], v[0:1], v[121:122]
	;; [unrolled: 1-line block ×4, first 2 shown]
	v_fma_f64 v[111:112], v[40:41], s[0:1], -v[153:154]
	v_add_f64 v[113:114], v[119:120], v[16:17]
	v_fma_f64 v[119:120], v[48:49], s[34:35], v[127:128]
	v_fma_f64 v[123:124], v[60:61], s[12:13], v[129:130]
	v_add_f64 v[127:128], v[0:1], v[18:19]
	v_fma_f64 v[129:130], v[96:97], s[34:35], v[105:106]
	v_mul_f64 v[133:134], v[94:95], s[4:5]
	v_add_f64 v[18:19], v[125:126], v[24:25]
	v_add_f64 v[24:25], v[135:136], v[107:108]
	v_fma_f64 v[107:108], v[34:35], s[20:21], v[28:29]
	v_add_f64 v[16:17], v[137:138], v[38:39]
	v_mul_f64 v[135:136], v[90:91], s[4:5]
	v_fma_f64 v[137:138], v[50:51], s[0:1], v[159:160]
	v_add_f64 v[117:118], v[143:144], v[117:118]
	v_fma_f64 v[143:144], v[54:55], s[20:21], v[145:146]
	v_fma_f64 v[145:146], v[54:55], s[20:21], -v[145:146]
	v_fma_f64 v[105:106], v[96:97], s[34:35], -v[105:106]
	v_add_f64 v[115:116], v[149:150], v[115:116]
	v_mul_f64 v[149:150], v[72:73], s[38:39]
	v_add_f64 v[121:122], v[147:148], v[121:122]
	v_fma_f64 v[147:148], v[56:57], s[16:17], -v[155:156]
	v_add_f64 v[36:37], v[131:132], v[36:37]
	v_mul_f64 v[131:132], v[82:83], s[50:51]
	v_add_f64 v[38:39], v[111:112], v[109:110]
	v_fma_f64 v[109:110], v[32:33], s[20:21], -v[30:31]
	v_add_f64 v[111:112], v[119:120], v[113:114]
	v_add_f64 v[113:114], v[123:124], v[127:128]
	v_fma_f64 v[119:120], v[56:57], s[16:17], v[155:156]
	v_add_f64 v[123:124], v[2:3], v[129:130]
	v_fma_f64 v[125:126], v[66:67], s[0:1], v[133:134]
	v_mul_f64 v[127:128], v[92:93], s[40:41]
	v_fma_f64 v[129:130], v[98:99], s[34:35], -v[157:158]
	v_add_f64 v[26:27], v[107:108], v[24:25]
	v_fma_f64 v[107:108], v[44:45], s[16:17], v[139:140]
	v_fma_f64 v[155:156], v[50:51], s[0:1], -v[159:160]
	v_fma_f64 v[133:134], v[66:67], s[0:1], -v[133:134]
	v_add_f64 v[117:118], v[143:144], v[117:118]
	v_mul_f64 v[143:144], v[78:79], s[48:49]
	v_add_f64 v[105:106], v[2:3], v[105:106]
	v_fma_f64 v[28:29], v[34:35], s[20:21], -v[28:29]
	v_add_f64 v[121:122], v[147:148], v[121:122]
	v_add_f64 v[36:37], v[141:142], v[36:37]
	v_fma_f64 v[147:148], v[52:53], s[20:21], -v[131:132]
	v_mul_f64 v[141:142], v[80:81], s[4:5]
	v_add_f64 v[24:25], v[109:110], v[38:39]
	v_fma_f64 v[109:110], v[52:53], s[20:21], v[131:132]
	v_mul_f64 v[131:132], v[86:87], s[40:41]
	v_add_f64 v[38:39], v[119:120], v[113:114]
	v_add_f64 v[113:114], v[125:126], v[123:124]
	v_fma_f64 v[119:120], v[64:65], s[28:29], v[127:128]
	v_mul_f64 v[123:124], v[88:89], s[10:11]
	v_add_f64 v[125:126], v[0:1], v[129:130]
	v_fma_f64 v[129:130], v[60:61], s[0:1], -v[135:136]
	v_add_f64 v[107:108], v[107:108], v[111:112]
	v_fma_f64 v[135:136], v[60:61], s[0:1], v[135:136]
	v_add_f64 v[117:118], v[137:138], v[117:118]
	v_fma_f64 v[137:138], v[46:47], s[34:35], v[143:144]
	v_fma_f64 v[143:144], v[46:47], s[34:35], -v[143:144]
	v_add_f64 v[105:106], v[133:134], v[105:106]
	v_fma_f64 v[127:128], v[64:65], s[28:29], -v[127:128]
	v_mul_f64 v[133:134], v[80:81], s[50:51]
	v_add_f64 v[36:37], v[145:146], v[36:37]
	v_add_f64 v[121:122], v[147:148], v[121:122]
	v_fma_f64 v[139:140], v[48:49], s[0:1], -v[141:142]
	v_mul_f64 v[145:146], v[76:77], s[48:49]
	v_fma_f64 v[147:148], v[98:99], s[34:35], v[157:158]
	v_mul_f64 v[157:158], v[102:103], s[50:51]
	v_add_f64 v[38:39], v[109:110], v[38:39]
	v_fma_f64 v[109:110], v[48:49], s[0:1], v[141:142]
	v_mul_f64 v[141:142], v[82:83], s[10:11]
	v_add_f64 v[111:112], v[119:120], v[113:114]
	;; [unrolled: 3-line block ×3, first 2 shown]
	v_fma_f64 v[129:130], v[56:57], s[28:29], -v[131:132]
	v_fma_f64 v[131:132], v[56:57], s[28:29], v[131:132]
	s_mov_b32 s49, 0x3fc7851a
	v_add_f64 v[117:118], v[137:138], v[117:118]
	v_mul_f64 v[137:138], v[74:75], s[38:39]
	s_mov_b32 s48, s4
	v_add_f64 v[105:106], v[127:128], v[105:106]
	v_fma_f64 v[127:128], v[48:49], s[20:21], -v[133:134]
	v_fma_f64 v[123:124], v[54:55], s[6:7], -v[123:124]
	v_add_f64 v[155:156], v[155:156], v[36:37]
	v_fma_f64 v[36:37], v[40:41], s[0:1], v[153:154]
	v_add_f64 v[121:122], v[139:140], v[121:122]
	v_fma_f64 v[139:140], v[44:45], s[34:35], -v[145:146]
	v_add_f64 v[147:148], v[0:1], v[147:148]
	v_mul_f64 v[153:154], v[78:79], s[14:15]
	v_fma_f64 v[145:146], v[44:45], s[34:35], v[145:146]
	v_add_f64 v[109:110], v[109:110], v[38:39]
	v_add_f64 v[38:39], v[151:152], v[115:116]
	v_fma_f64 v[115:116], v[96:97], s[20:21], v[157:158]
	v_add_f64 v[111:112], v[113:114], v[111:112]
	v_fma_f64 v[113:114], v[50:51], s[20:21], v[119:120]
	v_mul_f64 v[151:152], v[100:101], s[50:51]
	v_add_f64 v[125:126], v[129:130], v[125:126]
	v_fma_f64 v[129:130], v[52:53], s[6:7], -v[141:142]
	v_fma_f64 v[119:120], v[50:51], s[20:21], -v[119:120]
	v_fma_f64 v[133:134], v[48:49], s[20:21], v[133:134]
	v_add_f64 v[105:106], v[123:124], v[105:106]
	v_add_f64 v[143:144], v[143:144], v[155:156]
	;; [unrolled: 1-line block ×3, first 2 shown]
	v_mul_f64 v[107:108], v[94:95], s[22:23]
	v_add_f64 v[121:122], v[139:140], v[121:122]
	v_fma_f64 v[139:140], v[42:43], s[6:7], v[137:138]
	v_add_f64 v[135:136], v[135:136], v[147:148]
	v_fma_f64 v[147:148], v[40:41], s[6:7], -v[149:150]
	v_fma_f64 v[155:156], v[96:97], s[20:21], -v[157:158]
	v_add_f64 v[109:110], v[145:146], v[109:110]
	v_add_f64 v[115:116], v[2:3], v[115:116]
	v_fma_f64 v[137:138], v[42:43], s[6:7], -v[137:138]
	v_add_f64 v[111:112], v[113:114], v[111:112]
	v_fma_f64 v[113:114], v[46:47], s[12:13], v[153:154]
	v_fma_f64 v[145:146], v[98:99], s[20:21], -v[151:152]
	v_add_f64 v[125:126], v[129:130], v[125:126]
	v_mul_f64 v[129:130], v[76:77], s[14:15]
	v_fma_f64 v[151:152], v[98:99], s[20:21], v[151:152]
	v_mul_f64 v[123:124], v[72:73], s[46:47]
	v_fma_f64 v[149:150], v[40:41], s[6:7], v[149:150]
	v_fma_f64 v[153:154], v[46:47], s[12:13], -v[153:154]
	v_add_f64 v[105:106], v[119:120], v[105:106]
	v_add_f64 v[117:118], v[139:140], v[117:118]
	;; [unrolled: 1-line block ×3, first 2 shown]
	v_fma_f64 v[135:136], v[52:53], s[6:7], v[141:142]
	v_fma_f64 v[139:140], v[66:67], s[18:19], v[107:108]
	v_mul_f64 v[141:142], v[92:93], s[48:49]
	v_add_f64 v[121:122], v[147:148], v[121:122]
	v_mul_f64 v[147:148], v[90:91], s[22:23]
	v_fma_f64 v[107:108], v[66:67], s[18:19], -v[107:108]
	v_add_f64 v[155:156], v[2:3], v[155:156]
	v_add_f64 v[111:112], v[113:114], v[111:112]
	v_mul_f64 v[113:114], v[74:75], s[46:47]
	v_add_f64 v[125:126], v[127:128], v[125:126]
	v_fma_f64 v[127:128], v[44:45], s[12:13], -v[129:130]
	v_add_f64 v[137:138], v[137:138], v[143:144]
	v_add_f64 v[143:144], v[0:1], v[145:146]
	v_add_f64 v[151:152], v[0:1], v[151:152]
	v_fma_f64 v[119:120], v[40:41], s[18:19], -v[123:124]
	v_fma_f64 v[129:130], v[44:45], s[12:13], v[129:130]
	v_add_f64 v[109:110], v[149:150], v[109:110]
	v_mul_f64 v[149:150], v[100:101], s[42:43]
	v_mul_f64 v[100:101], v[100:101], s[38:39]
	v_add_f64 v[105:106], v[153:154], v[105:106]
	v_fma_f64 v[123:124], v[40:41], s[18:19], v[123:124]
	v_add_f64 v[131:132], v[135:136], v[131:132]
	v_add_f64 v[115:116], v[139:140], v[115:116]
	v_fma_f64 v[135:136], v[64:65], s[0:1], v[141:142]
	v_mul_f64 v[139:140], v[88:89], s[40:41]
	v_fma_f64 v[145:146], v[60:61], s[18:19], -v[147:148]
	v_fma_f64 v[141:142], v[64:65], s[0:1], -v[141:142]
	v_add_f64 v[107:108], v[107:108], v[155:156]
	v_mul_f64 v[155:156], v[86:87], s[48:49]
	v_fma_f64 v[147:148], v[60:61], s[18:19], v[147:148]
	v_add_f64 v[125:126], v[127:128], v[125:126]
	v_fma_f64 v[127:128], v[42:43], s[18:19], v[113:114]
	v_fma_f64 v[113:114], v[42:43], s[18:19], -v[113:114]
	v_fma_f64 v[153:154], v[98:99], s[16:17], -v[149:150]
	v_fma_f64 v[149:150], v[98:99], s[16:17], v[149:150]
	v_add_f64 v[131:132], v[133:134], v[131:132]
	v_add_f64 v[115:116], v[135:136], v[115:116]
	v_fma_f64 v[133:134], v[54:55], s[28:29], v[139:140]
	v_mul_f64 v[135:136], v[84:85], s[26:27]
	v_add_f64 v[143:144], v[145:146], v[143:144]
	v_add_f64 v[107:108], v[141:142], v[107:108]
	v_fma_f64 v[145:146], v[56:57], s[0:1], -v[155:156]
	v_mul_f64 v[141:142], v[82:83], s[40:41]
	v_fma_f64 v[139:140], v[54:55], s[28:29], -v[139:140]
	v_add_f64 v[147:148], v[147:148], v[151:152]
	v_mul_f64 v[151:152], v[102:103], s[42:43]
	v_fma_f64 v[155:156], v[56:57], s[0:1], v[155:156]
	v_mul_f64 v[102:103], v[102:103], s[38:39]
	v_add_f64 v[111:112], v[127:128], v[111:112]
	v_add_f64 v[119:120], v[119:120], v[125:126]
	;; [unrolled: 1-line block ×5, first 2 shown]
	v_mul_f64 v[129:130], v[78:79], s[38:39]
	v_add_f64 v[115:116], v[133:134], v[115:116]
	v_fma_f64 v[125:126], v[50:51], s[16:17], v[135:136]
	v_fma_f64 v[135:136], v[50:51], s[16:17], -v[135:136]
	v_add_f64 v[131:132], v[145:146], v[143:144]
	v_fma_f64 v[133:134], v[52:53], s[28:29], -v[141:142]
	v_add_f64 v[107:108], v[139:140], v[107:108]
	v_mul_f64 v[145:146], v[94:95], s[36:37]
	v_fma_f64 v[139:140], v[96:97], s[16:17], v[151:152]
	v_mul_f64 v[143:144], v[80:81], s[26:27]
	v_add_f64 v[147:148], v[155:156], v[147:148]
	v_fma_f64 v[141:142], v[52:53], s[28:29], v[141:142]
	v_fma_f64 v[151:152], v[96:97], s[16:17], -v[151:152]
	v_fma_f64 v[155:156], v[96:97], s[6:7], v[102:103]
	v_fma_f64 v[96:97], v[96:97], s[6:7], -v[102:103]
	v_fma_f64 v[102:103], v[98:99], s[6:7], -v[100:101]
	v_fma_f64 v[98:99], v[98:99], s[6:7], v[100:101]
	v_mul_f64 v[100:101], v[90:91], s[36:37]
	v_mul_f64 v[94:95], v[94:95], s[42:43]
	;; [unrolled: 1-line block ×3, first 2 shown]
	v_fma_f64 v[113:114], v[46:47], s[6:7], v[129:130]
	v_fma_f64 v[129:130], v[46:47], s[6:7], -v[129:130]
	v_add_f64 v[123:124], v[123:124], v[127:128]
	v_add_f64 v[115:116], v[125:126], v[115:116]
	v_mul_f64 v[127:128], v[62:63], s[22:23]
	v_add_f64 v[125:126], v[133:134], v[131:132]
	v_add_f64 v[107:108], v[135:136], v[107:108]
	v_fma_f64 v[133:134], v[66:67], s[34:35], v[145:146]
	v_add_f64 v[131:132], v[2:3], v[139:140]
	v_mul_f64 v[139:140], v[92:93], s[22:23]
	v_fma_f64 v[135:136], v[48:49], s[16:17], -v[143:144]
	v_add_f64 v[141:142], v[141:142], v[147:148]
	v_add_f64 v[147:148], v[0:1], v[153:154]
	v_fma_f64 v[145:146], v[66:67], s[34:35], -v[145:146]
	v_add_f64 v[151:152], v[2:3], v[151:152]
	v_add_f64 v[155:156], v[2:3], v[155:156]
	;; [unrolled: 1-line block ×3, first 2 shown]
	v_fma_f64 v[153:154], v[60:61], s[34:35], v[100:101]
	v_add_f64 v[2:3], v[2:3], v[96:97]
	v_add_f64 v[0:1], v[0:1], v[98:99]
	v_mul_f64 v[96:97], v[86:87], s[22:23]
	v_fma_f64 v[98:99], v[66:67], s[16:17], -v[94:95]
	v_mul_f64 v[92:93], v[92:93], s[50:51]
	v_add_f64 v[113:114], v[113:114], v[115:116]
	v_fma_f64 v[115:116], v[60:61], s[16:17], v[90:91]
	v_mul_f64 v[86:87], v[86:87], s[50:51]
	v_fma_f64 v[100:101], v[60:61], s[34:35], -v[100:101]
	v_fma_f64 v[66:67], v[66:67], s[16:17], v[94:95]
	v_fma_f64 v[60:61], v[60:61], s[16:17], -v[90:91]
	v_fma_f64 v[143:144], v[48:49], s[16:17], v[143:144]
	v_add_f64 v[131:132], v[133:134], v[131:132]
	v_fma_f64 v[133:134], v[64:65], s[18:19], v[139:140]
	v_add_f64 v[125:126], v[135:136], v[125:126]
	v_mul_f64 v[135:136], v[88:89], s[4:5]
	v_fma_f64 v[139:140], v[64:65], s[18:19], -v[139:140]
	v_mul_f64 v[88:89], v[88:89], s[36:37]
	v_add_f64 v[145:146], v[145:146], v[151:152]
	v_mul_f64 v[151:152], v[82:83], s[4:5]
	v_mul_f64 v[82:83], v[82:83], s[36:37]
	v_add_f64 v[149:150], v[153:154], v[149:150]
	v_add_f64 v[107:108], v[129:130], v[107:108]
	v_mul_f64 v[94:95], v[58:59], s[22:23]
	v_fma_f64 v[153:154], v[56:57], s[18:19], v[96:97]
	v_add_f64 v[2:3], v[98:99], v[2:3]
	v_fma_f64 v[98:99], v[64:65], s[20:21], -v[92:93]
	v_fma_f64 v[96:97], v[56:57], s[18:19], -v[96:97]
	v_add_f64 v[0:1], v[115:116], v[0:1]
	v_fma_f64 v[90:91], v[56:57], s[20:21], v[86:87]
	v_fma_f64 v[64:65], v[64:65], s[20:21], v[92:93]
	v_add_f64 v[66:67], v[66:67], v[155:156]
	v_fma_f64 v[56:57], v[56:57], s[20:21], -v[86:87]
	v_add_f64 v[60:61], v[60:61], v[102:103]
	v_add_f64 v[129:130], v[143:144], v[141:142]
	;; [unrolled: 1-line block ×3, first 2 shown]
	v_fma_f64 v[133:134], v[32:33], s[20:21], v[30:31]
	v_add_f64 v[30:31], v[100:101], v[147:148]
	v_fma_f64 v[115:116], v[54:55], s[0:1], v[135:136]
	v_mul_f64 v[141:142], v[84:85], s[44:45]
	v_add_f64 v[139:140], v[139:140], v[145:146]
	v_fma_f64 v[135:136], v[54:55], s[0:1], -v[135:136]
	v_fma_f64 v[145:146], v[52:53], s[0:1], v[151:152]
	v_fma_f64 v[92:93], v[54:55], s[34:35], -v[88:89]
	v_mul_f64 v[84:85], v[84:85], s[30:31]
	v_fma_f64 v[54:55], v[54:55], s[34:35], v[88:89]
	v_add_f64 v[143:144], v[153:154], v[149:150]
	v_fma_f64 v[149:150], v[52:53], s[0:1], -v[151:152]
	v_add_f64 v[2:3], v[98:99], v[2:3]
	v_mul_f64 v[98:99], v[80:81], s[44:45]
	v_mul_f64 v[80:81], v[80:81], s[30:31]
	v_add_f64 v[0:1], v[90:91], v[0:1]
	v_fma_f64 v[90:91], v[52:53], s[34:35], v[82:83]
	v_add_f64 v[64:65], v[64:65], v[66:67]
	v_fma_f64 v[52:53], v[52:53], s[34:35], -v[82:83]
	v_add_f64 v[56:57], v[56:57], v[60:61]
	v_mul_f64 v[88:89], v[76:77], s[40:41]
	v_mul_f64 v[66:67], v[74:75], s[36:37]
	;; [unrolled: 1-line block ×3, first 2 shown]
	v_add_f64 v[30:31], v[96:97], v[30:31]
	v_mul_f64 v[96:97], v[76:77], s[38:39]
	v_add_f64 v[115:116], v[115:116], v[131:132]
	v_mul_f64 v[76:77], v[76:77], s[22:23]
	v_add_f64 v[135:136], v[135:136], v[139:140]
	v_fma_f64 v[139:140], v[50:51], s[12:13], -v[141:142]
	v_fma_f64 v[141:142], v[50:51], s[12:13], v[141:142]
	v_mul_f64 v[102:103], v[58:59], s[26:27]
	v_fma_f64 v[100:101], v[34:35], s[18:19], v[127:128]
	v_add_f64 v[131:132], v[145:146], v[143:144]
	v_mul_f64 v[145:146], v[78:79], s[40:41]
	v_add_f64 v[2:3], v[92:93], v[2:3]
	v_fma_f64 v[143:144], v[48:49], s[12:13], v[98:99]
	v_fma_f64 v[92:93], v[50:51], s[28:29], -v[84:85]
	v_mul_f64 v[78:79], v[78:79], s[22:23]
	v_add_f64 v[0:1], v[90:91], v[0:1]
	v_fma_f64 v[90:91], v[48:49], s[28:29], v[80:81]
	v_fma_f64 v[98:99], v[48:49], s[12:13], -v[98:99]
	v_fma_f64 v[50:51], v[50:51], s[28:29], v[84:85]
	v_add_f64 v[54:55], v[54:55], v[64:65]
	v_fma_f64 v[48:49], v[48:49], s[28:29], -v[80:81]
	v_add_f64 v[52:53], v[52:53], v[56:57]
	v_add_f64 v[30:31], v[149:150], v[30:31]
	v_fma_f64 v[149:150], v[44:45], s[6:7], v[96:97]
	v_fma_f64 v[84:85], v[44:45], s[28:29], v[88:89]
	v_mul_f64 v[80:81], v[72:73], s[24:25]
	v_fma_f64 v[96:97], v[44:45], s[6:7], -v[96:97]
	v_add_f64 v[135:136], v[139:140], v[135:136]
	v_mul_f64 v[139:140], v[72:73], s[36:37]
	v_mul_f64 v[72:73], v[72:73], s[14:15]
	v_fma_f64 v[64:65], v[42:43], s[34:35], v[66:67]
	v_fma_f64 v[66:67], v[42:43], s[34:35], -v[66:67]
	v_add_f64 v[115:116], v[141:142], v[115:116]
	v_fma_f64 v[88:89], v[44:45], s[28:29], -v[88:89]
	v_add_f64 v[131:132], v[143:144], v[131:132]
	v_mul_f64 v[143:144], v[74:75], s[24:25]
	v_add_f64 v[2:3], v[92:93], v[2:3]
	v_fma_f64 v[92:93], v[46:47], s[28:29], -v[145:146]
	v_fma_f64 v[56:57], v[46:47], s[18:19], -v[78:79]
	v_mul_f64 v[74:75], v[74:75], s[14:15]
	v_add_f64 v[0:1], v[90:91], v[0:1]
	v_fma_f64 v[90:91], v[44:45], s[18:19], v[76:77]
	v_fma_f64 v[145:146], v[46:47], s[28:29], v[145:146]
	;; [unrolled: 1-line block ×3, first 2 shown]
	v_add_f64 v[30:31], v[98:99], v[30:31]
	v_add_f64 v[50:51], v[50:51], v[54:55]
	v_fma_f64 v[44:45], v[44:45], s[18:19], -v[76:77]
	v_add_f64 v[48:49], v[48:49], v[52:53]
	v_add_f64 v[129:130], v[149:150], v[129:130]
	v_mul_f64 v[149:150], v[62:63], s[14:15]
	v_mul_f64 v[98:99], v[62:63], s[10:11]
	v_fma_f64 v[52:53], v[40:41], s[20:21], v[80:81]
	v_mul_f64 v[62:63], v[62:63], s[4:5]
	v_mul_f64 v[76:77], v[58:59], s[4:5]
	;; [unrolled: 1-line block ×3, first 2 shown]
	v_fma_f64 v[141:142], v[40:41], s[34:35], v[139:140]
	v_add_f64 v[84:85], v[84:85], v[131:132]
	v_mul_f64 v[58:59], v[58:59], s[14:15]
	v_add_f64 v[66:67], v[66:67], v[107:108]
	v_add_f64 v[92:93], v[92:93], v[135:136]
	v_fma_f64 v[135:136], v[42:43], s[20:21], -v[143:144]
	v_add_f64 v[2:3], v[56:57], v[2:3]
	v_fma_f64 v[54:55], v[42:43], s[12:13], -v[74:75]
	v_add_f64 v[0:1], v[90:91], v[0:1]
	v_fma_f64 v[56:57], v[40:41], s[12:13], v[72:73]
	v_add_f64 v[90:91], v[96:97], v[125:126]
	v_fma_f64 v[96:97], v[40:41], s[34:35], -v[139:140]
	v_add_f64 v[107:108], v[145:146], v[115:116]
	v_fma_f64 v[115:116], v[42:43], s[20:21], v[143:144]
	v_add_f64 v[30:31], v[88:89], v[30:31]
	v_fma_f64 v[80:81], v[40:41], s[20:21], -v[80:81]
	v_fma_f64 v[42:43], v[42:43], s[12:13], v[74:75]
	v_add_f64 v[46:47], v[46:47], v[50:51]
	v_fma_f64 v[40:41], v[40:41], s[12:13], -v[72:73]
	v_add_f64 v[44:45], v[44:45], v[48:49]
	v_fma_f64 v[72:73], v[32:33], s[0:1], v[76:77]
	v_fma_f64 v[74:75], v[32:33], s[6:7], v[78:79]
	v_add_f64 v[88:89], v[141:142], v[129:130]
	v_add_f64 v[50:51], v[52:53], v[84:85]
	v_fma_f64 v[52:53], v[34:35], s[6:7], -v[98:99]
	v_fma_f64 v[125:126], v[34:35], s[12:13], -v[149:150]
	v_fma_f64 v[84:85], v[32:33], s[12:13], v[58:59]
	v_add_f64 v[48:49], v[135:136], v[92:93]
	v_fma_f64 v[82:83], v[34:35], s[16:17], v[86:87]
	v_add_f64 v[54:55], v[54:55], v[2:3]
	v_fma_f64 v[86:87], v[34:35], s[16:17], -v[86:87]
	v_add_f64 v[0:1], v[56:57], v[0:1]
	v_fma_f64 v[56:57], v[34:35], s[0:1], -v[62:63]
	v_fma_f64 v[92:93], v[32:33], s[16:17], v[102:103]
	v_fma_f64 v[147:148], v[32:33], s[18:19], -v[94:95]
	v_fma_f64 v[127:128], v[34:35], s[18:19], -v[127:128]
	v_fma_f64 v[94:95], v[32:33], s[18:19], v[94:95]
	v_fma_f64 v[60:61], v[32:33], s[16:17], -v[102:103]
	v_add_f64 v[64:65], v[64:65], v[113:114]
	v_add_f64 v[90:91], v[96:97], v[90:91]
	v_fma_f64 v[96:97], v[34:35], s[12:13], v[149:150]
	v_fma_f64 v[58:59], v[32:33], s[12:13], -v[58:59]
	v_add_f64 v[102:103], v[115:116], v[107:108]
	v_add_f64 v[80:81], v[80:81], v[30:31]
	v_fma_f64 v[98:99], v[34:35], s[6:7], v[98:99]
	v_fma_f64 v[78:79], v[32:33], s[6:7], -v[78:79]
	v_fma_f64 v[107:108], v[34:35], s[0:1], v[62:63]
	v_add_f64 v[113:114], v[42:43], v[46:47]
	v_fma_f64 v[76:77], v[32:33], s[0:1], -v[76:77]
	v_add_f64 v[115:116], v[40:41], v[44:45]
	v_add_f64 v[44:45], v[52:53], v[48:49]
	v_add_f64 v[42:43], v[74:75], v[50:51]
	v_add_f64 v[2:3], v[28:29], v[38:39]
	v_add_f64 v[46:47], v[72:73], v[0:1]
	v_add_f64 v[48:49], v[56:57], v[54:55]
	v_add_f64 v[40:41], v[125:126], v[66:67]
	v_add_f64 v[38:39], v[84:85], v[88:89]
	v_add_f64 v[34:35], v[86:87], v[105:106]
	v_add_f64 v[32:33], v[92:93], v[123:124]
	v_add_f64 v[30:31], v[127:128], v[137:138]
	v_add_f64 v[28:29], v[94:95], v[109:110]
	v_add_f64 v[0:1], v[133:134], v[36:37]
	v_add_f64 v[52:53], v[100:101], v[117:118]
	v_add_f64 v[50:51], v[147:148], v[121:122]
	v_add_f64 v[56:57], v[82:83], v[111:112]
	v_add_f64 v[54:55], v[60:61], v[119:120]
	v_add_f64 v[60:61], v[96:97], v[64:65]
	v_add_f64 v[58:59], v[58:59], v[90:91]
	v_add_f64 v[64:65], v[98:99], v[102:103]
	v_add_f64 v[62:63], v[78:79], v[80:81]
	v_add_f64 v[74:75], v[107:108], v[113:114]
	v_add_f64 v[72:73], v[76:77], v[115:116]
	v_lshl_add_u32 v36, v68, 8, v104
	ds_write_b128 v36, v[4:7]
	ds_write_b128 v36, v[46:49] offset:16
	ds_write_b128 v36, v[42:45] offset:32
	;; [unrolled: 1-line block ×16, first 2 shown]
.LBB0_13:
	s_or_b32 exec_lo, exec_lo, s33
	v_and_b32_e32 v0, 0xff, v68
	v_mov_b32_e32 v2, 9
	s_waitcnt lgkmcnt(0)
	s_barrier
	buffer_gl0_inv
	v_mul_lo_u16 v0, 0xf1, v0
	s_mov_b32 s12, 0x134454ff
	s_mov_b32 s13, 0xbfee6f0e
	;; [unrolled: 1-line block ×4, first 2 shown]
	v_lshrrev_b16 v0, 12, v0
	s_mov_b32 s14, 0x4755a5e
	s_mov_b32 s15, 0xbfe2cf23
	s_mov_b32 s11, 0x3fe2cf23
	s_mov_b32 s10, s14
	v_mul_lo_u16 v1, v0, 17
	s_mov_b32 s4, 0x372fe950
	s_mov_b32 s5, 0x3fd3c6ef
	s_mov_b32 s16, 0x9b97f4a8
	s_mov_b32 s17, 0x3fe9e377
	v_sub_nc_u16 v1, v68, v1
	s_mov_b32 s19, 0xbfd3c6ef
	s_mov_b32 s18, s4
	;; [unrolled: 1-line block ×4, first 2 shown]
	v_mul_u32_u24_sdwa v2, v1, v2 dst_sel:DWORD dst_unused:UNUSED_PAD src0_sel:BYTE_0 src1_sel:DWORD
	v_mov_b32_e32 v69, 0xaa0
	v_mul_u32_u24_e32 v113, 9, v68
	s_add_u32 s1, s8, 0x6930
	v_lshlrev_b32_e32 v34, 4, v2
	s_clause 0x8
	global_load_dwordx4 v[2:5], v34, s[8:9] offset:32
	global_load_dwordx4 v[6:9], v34, s[8:9] offset:64
	;; [unrolled: 1-line block ×4, first 2 shown]
	global_load_dwordx4 v[18:21], v34, s[8:9]
	global_load_dwordx4 v[22:25], v34, s[8:9] offset:16
	global_load_dwordx4 v[26:29], v34, s[8:9] offset:48
	;; [unrolled: 1-line block ×4, first 2 shown]
	ds_read_b128 v[38:41], v104 offset:8160
	ds_read_b128 v[42:45], v104 offset:13600
	;; [unrolled: 1-line block ×9, first 2 shown]
	ds_read_b128 v[80:83], v104
	s_waitcnt vmcnt(0) lgkmcnt(0)
	s_barrier
	buffer_gl0_inv
	v_mul_f64 v[66:67], v[38:39], v[4:5]
	v_mul_f64 v[84:85], v[42:43], v[8:9]
	v_mul_f64 v[86:87], v[46:47], v[12:13]
	v_mul_f64 v[88:89], v[50:51], v[16:17]
	v_mul_f64 v[90:91], v[54:55], v[20:21]
	v_mul_f64 v[4:5], v[40:41], v[4:5]
	v_mul_f64 v[8:9], v[44:45], v[8:9]
	v_mul_f64 v[12:13], v[48:49], v[12:13]
	v_mul_f64 v[16:17], v[52:53], v[16:17]
	v_mul_f64 v[92:93], v[60:61], v[24:25]
	v_mul_f64 v[24:25], v[58:59], v[24:25]
	v_mul_f64 v[94:95], v[64:65], v[28:29]
	v_mul_f64 v[28:29], v[62:63], v[28:29]
	v_mul_f64 v[96:97], v[74:75], v[32:33]
	v_mul_f64 v[32:33], v[72:73], v[32:33]
	v_mul_f64 v[98:99], v[76:77], v[36:37]
	v_mul_f64 v[36:37], v[78:79], v[36:37]
	v_mul_f64 v[20:21], v[56:57], v[20:21]
	v_fma_f64 v[40:41], v[40:41], v[2:3], -v[66:67]
	v_fma_f64 v[44:45], v[44:45], v[6:7], -v[84:85]
	;; [unrolled: 1-line block ×4, first 2 shown]
	v_fma_f64 v[2:3], v[38:39], v[2:3], v[4:5]
	v_fma_f64 v[6:7], v[42:43], v[6:7], v[8:9]
	;; [unrolled: 1-line block ×4, first 2 shown]
	v_fma_f64 v[14:15], v[56:57], v[18:19], -v[90:91]
	v_fma_f64 v[58:59], v[58:59], v[22:23], v[92:93]
	v_fma_f64 v[22:23], v[60:61], v[22:23], -v[24:25]
	v_fma_f64 v[4:5], v[62:63], v[26:27], v[94:95]
	;; [unrolled: 2-line block ×3, first 2 shown]
	v_fma_f64 v[30:31], v[74:75], v[30:31], -v[32:33]
	v_fma_f64 v[28:29], v[78:79], v[34:35], -v[98:99]
	v_fma_f64 v[8:9], v[76:77], v[34:35], v[36:37]
	v_fma_f64 v[18:19], v[54:55], v[18:19], v[20:21]
	v_add_f64 v[90:91], v[40:41], -v[44:45]
	v_add_f64 v[16:17], v[44:45], v[48:49]
	v_add_f64 v[32:33], v[40:41], v[52:53]
	v_add_f64 v[88:89], v[40:41], -v[52:53]
	v_add_f64 v[92:93], v[52:53], -v[48:49]
	;; [unrolled: 1-line block ×3, first 2 shown]
	v_add_f64 v[50:51], v[6:7], v[10:11]
	v_add_f64 v[54:55], v[2:3], v[12:13]
	v_add_f64 v[56:57], v[2:3], -v[12:13]
	v_add_f64 v[60:61], v[6:7], -v[10:11]
	v_add_f64 v[20:21], v[80:81], v[58:59]
	v_add_f64 v[42:43], v[58:59], -v[4:5]
	v_add_f64 v[94:95], v[44:45], -v[40:41]
	v_add_f64 v[34:35], v[4:5], v[26:27]
	v_add_f64 v[74:75], v[24:25], v[30:31]
	;; [unrolled: 1-line block ×3, first 2 shown]
	v_add_f64 v[46:47], v[8:9], -v[26:27]
	v_add_f64 v[62:63], v[58:59], v[8:9]
	v_add_f64 v[96:97], v[48:49], -v[52:53]
	v_add_f64 v[72:73], v[82:83], v[22:23]
	v_add_f64 v[36:37], v[22:23], -v[28:29]
	v_add_f64 v[38:39], v[24:25], -v[30:31]
	;; [unrolled: 1-line block ×3, first 2 shown]
	v_fma_f64 v[16:17], v[16:17], -0.5, v[14:15]
	v_fma_f64 v[32:33], v[32:33], -0.5, v[14:15]
	v_add_f64 v[14:15], v[14:15], v[40:41]
	v_add_f64 v[66:67], v[26:27], -v[8:9]
	v_add_f64 v[58:59], v[58:59], -v[8:9]
	v_fma_f64 v[50:51], v[50:51], -0.5, v[18:19]
	v_fma_f64 v[54:55], v[54:55], -0.5, v[18:19]
	v_add_f64 v[18:19], v[18:19], v[2:3]
	v_add_f64 v[76:77], v[4:5], -v[26:27]
	v_add_f64 v[107:108], v[2:3], -v[6:7]
	;; [unrolled: 1-line block ×3, first 2 shown]
	v_add_f64 v[4:5], v[20:21], v[4:5]
	v_fma_f64 v[34:35], v[34:35], -0.5, v[80:81]
	v_add_f64 v[2:3], v[6:7], -v[2:3]
	v_add_f64 v[111:112], v[10:11], -v[12:13]
	v_add_f64 v[40:41], v[42:43], v[46:47]
	v_fma_f64 v[20:21], v[62:63], -0.5, v[80:81]
	v_fma_f64 v[42:43], v[74:75], -0.5, v[82:83]
	;; [unrolled: 1-line block ×3, first 2 shown]
	v_add_f64 v[62:63], v[90:91], v[92:93]
	v_add_f64 v[74:75], v[94:95], v[96:97]
	v_add_f64 v[78:79], v[22:23], -v[24:25]
	v_fma_f64 v[102:103], v[56:57], s[6:7], v[16:17]
	v_fma_f64 v[105:106], v[60:61], s[12:13], v[32:33]
	;; [unrolled: 1-line block ×4, first 2 shown]
	v_add_f64 v[22:23], v[24:25], -v[22:23]
	v_fma_f64 v[80:81], v[88:89], s[12:13], v[50:51]
	v_fma_f64 v[82:83], v[98:99], s[6:7], v[54:55]
	;; [unrolled: 1-line block ×4, first 2 shown]
	v_add_f64 v[24:25], v[72:73], v[24:25]
	v_add_f64 v[6:7], v[18:19], v[6:7]
	;; [unrolled: 1-line block ×3, first 2 shown]
	v_add_f64 v[84:85], v[28:29], -v[30:31]
	v_add_f64 v[18:19], v[107:108], v[109:110]
	v_fma_f64 v[44:45], v[36:37], s[12:13], v[34:35]
	v_fma_f64 v[34:35], v[36:37], s[6:7], v[34:35]
	v_add_f64 v[100:101], v[30:31], -v[28:29]
	v_add_f64 v[2:3], v[2:3], v[111:112]
	v_add_f64 v[4:5], v[4:5], v[26:27]
	v_fma_f64 v[86:87], v[60:61], s[10:11], v[102:103]
	v_fma_f64 v[90:91], v[56:57], s[10:11], v[105:106]
	;; [unrolled: 1-line block ×4, first 2 shown]
	v_add_f64 v[56:57], v[64:65], v[66:67]
	v_fma_f64 v[60:61], v[38:39], s[6:7], v[20:21]
	v_fma_f64 v[20:21], v[38:39], s[12:13], v[20:21]
	;; [unrolled: 1-line block ×10, first 2 shown]
	v_add_f64 v[24:25], v[24:25], v[30:31]
	v_add_f64 v[6:7], v[6:7], v[10:11]
	v_add_f64 v[10:11], v[14:15], v[48:49]
	v_fma_f64 v[14:15], v[38:39], s[14:15], v[44:45]
	v_fma_f64 v[26:27], v[38:39], s[10:11], v[34:35]
	v_add_f64 v[22:23], v[22:23], v[100:101]
	v_add_f64 v[4:5], v[4:5], v[8:9]
	v_fma_f64 v[82:83], v[62:63], s[4:5], v[86:87]
	v_fma_f64 v[86:87], v[74:75], s[4:5], v[90:91]
	v_fma_f64 v[32:33], v[74:75], s[4:5], v[32:33]
	v_fma_f64 v[16:17], v[62:63], s[4:5], v[16:17]
	v_add_f64 v[62:63], v[78:79], v[84:85]
	v_fma_f64 v[30:31], v[36:37], s[14:15], v[60:61]
	v_fma_f64 v[20:21], v[36:37], s[10:11], v[20:21]
	;; [unrolled: 1-line block ×10, first 2 shown]
	v_add_f64 v[8:9], v[24:25], v[28:29]
	v_add_f64 v[6:7], v[6:7], v[12:13]
	;; [unrolled: 1-line block ×3, first 2 shown]
	v_fma_f64 v[24:25], v[40:41], s[4:5], v[14:15]
	v_fma_f64 v[26:27], v[40:41], s[4:5], v[26:27]
	v_mov_b32_e32 v66, 4
	v_mul_f64 v[48:49], v[82:83], s[14:15]
	v_mul_f64 v[60:61], v[82:83], s[16:17]
	;; [unrolled: 1-line block ×8, first 2 shown]
	v_fma_f64 v[34:35], v[62:63], s[4:5], v[34:35]
	v_fma_f64 v[40:41], v[62:63], s[4:5], v[36:37]
	;; [unrolled: 1-line block ×6, first 2 shown]
	v_mul_u32_u24_sdwa v62, v0, v69 dst_sel:DWORD dst_unused:UNUSED_PAD src0_sel:WORD_0 src1_sel:DWORD
	v_lshlrev_b32_sdwa v63, v66, v1 dst_sel:DWORD dst_unused:UNUSED_PAD src0_sel:DWORD src1_sel:BYTE_0
	v_lshlrev_b32_e32 v67, 4, v113
	v_add_f64 v[0:1], v[4:5], v[6:7]
	v_add_f64 v[4:5], v[4:5], -v[6:7]
	v_add_f64 v[6:7], v[8:9], -v[10:11]
	v_mov_b32_e32 v69, 0
	v_fma_f64 v[36:37], v[44:45], s[16:17], v[48:49]
	v_fma_f64 v[44:45], v[44:45], s[10:11], v[60:61]
	;; [unrolled: 1-line block ×8, first 2 shown]
	v_add_f64 v[2:3], v[8:9], v[10:11]
	v_add_co_u32 v60, s0, s8, v67
	v_add_co_ci_u32_e64 v61, null, s9, 0, s0
	v_add_co_u32 v58, s0, 0x990, v60
	v_add_co_ci_u32_e64 v59, s0, 0, v61, s0
	v_add_f64 v[8:9], v[24:25], v[36:37]
	v_add_f64 v[10:11], v[34:35], v[44:45]
	;; [unrolled: 1-line block ×8, first 2 shown]
	v_add_f64 v[24:25], v[24:25], -v[36:37]
	v_add_f64 v[36:37], v[26:27], -v[52:53]
	;; [unrolled: 1-line block ×8, first 2 shown]
	v_add_co_u32 v40, s0, 0x800, v60
	v_add_co_ci_u32_e64 v41, s0, 0, v61, s0
	v_add3_u32 v44, 0, v62, v63
	v_add_co_u32 v42, s0, 0x9d0, v60
	v_add_co_ci_u32_e64 v43, s0, 0, v61, s0
	ds_write_b128 v44, v[0:3]
	ds_write_b128 v44, v[4:7] offset:1360
	ds_write_b128 v44, v[8:11] offset:272
	;; [unrolled: 1-line block ×9, first 2 shown]
	s_waitcnt lgkmcnt(0)
	s_barrier
	buffer_gl0_inv
	s_clause 0x8
	global_load_dwordx4 v[0:3], v[58:59], off offset:32
	global_load_dwordx4 v[4:7], v[40:41], off offset:464
	;; [unrolled: 1-line block ×9, first 2 shown]
	ds_read_b128 v[36:39], v104 offset:8160
	ds_read_b128 v[40:43], v104 offset:13600
	;; [unrolled: 1-line block ×9, first 2 shown]
	s_waitcnt vmcnt(8) lgkmcnt(8)
	v_mul_f64 v[76:77], v[36:37], v[2:3]
	s_waitcnt vmcnt(7) lgkmcnt(7)
	v_mul_f64 v[78:79], v[40:41], v[6:7]
	;; [unrolled: 2-line block ×5, first 2 shown]
	v_mul_f64 v[2:3], v[38:39], v[2:3]
	v_mul_f64 v[6:7], v[42:43], v[6:7]
	;; [unrolled: 1-line block ×4, first 2 shown]
	s_waitcnt vmcnt(3) lgkmcnt(3)
	v_mul_f64 v[86:87], v[58:59], v[22:23]
	v_mul_f64 v[22:23], v[56:57], v[22:23]
	s_waitcnt vmcnt(2) lgkmcnt(2)
	v_mul_f64 v[88:89], v[62:63], v[26:27]
	v_mul_f64 v[26:27], v[60:61], v[26:27]
	;; [unrolled: 3-line block ×4, first 2 shown]
	v_mul_f64 v[18:19], v[54:55], v[18:19]
	v_fma_f64 v[38:39], v[38:39], v[0:1], -v[76:77]
	v_fma_f64 v[42:43], v[42:43], v[4:5], -v[78:79]
	;; [unrolled: 1-line block ×4, first 2 shown]
	ds_read_b128 v[76:79], v104
	v_fma_f64 v[0:1], v[36:37], v[0:1], v[2:3]
	v_fma_f64 v[4:5], v[40:41], v[4:5], v[6:7]
	;; [unrolled: 1-line block ×4, first 2 shown]
	v_fma_f64 v[12:13], v[54:55], v[16:17], -v[84:85]
	v_fma_f64 v[56:57], v[56:57], v[20:21], v[86:87]
	v_fma_f64 v[20:21], v[58:59], v[20:21], -v[22:23]
	v_fma_f64 v[2:3], v[60:61], v[24:25], v[88:89]
	;; [unrolled: 2-line block ×3, first 2 shown]
	v_fma_f64 v[28:29], v[66:67], v[28:29], -v[30:31]
	v_fma_f64 v[26:27], v[74:75], v[32:33], -v[92:93]
	v_fma_f64 v[6:7], v[72:73], v[32:33], v[34:35]
	v_fma_f64 v[16:17], v[52:53], v[16:17], v[18:19]
	s_waitcnt lgkmcnt(0)
	s_barrier
	buffer_gl0_inv
	v_add_f64 v[88:89], v[38:39], -v[42:43]
	v_add_f64 v[14:15], v[42:43], v[46:47]
	v_add_f64 v[30:31], v[38:39], v[50:51]
	v_add_f64 v[86:87], v[38:39], -v[50:51]
	v_add_f64 v[90:91], v[50:51], -v[46:47]
	;; [unrolled: 1-line block ×3, first 2 shown]
	v_add_f64 v[48:49], v[4:5], v[8:9]
	v_add_f64 v[52:53], v[0:1], v[10:11]
	v_add_f64 v[54:55], v[0:1], -v[10:11]
	v_add_f64 v[58:59], v[4:5], -v[8:9]
	v_add_f64 v[18:19], v[76:77], v[56:57]
	v_add_f64 v[40:41], v[56:57], -v[2:3]
	v_add_f64 v[92:93], v[42:43], -v[38:39]
	v_add_f64 v[32:33], v[2:3], v[24:25]
	v_add_f64 v[72:73], v[22:23], v[28:29]
	;; [unrolled: 1-line block ×3, first 2 shown]
	v_add_f64 v[44:45], v[6:7], -v[24:25]
	v_add_f64 v[60:61], v[56:57], v[6:7]
	v_add_f64 v[94:95], v[46:47], -v[50:51]
	v_add_f64 v[66:67], v[78:79], v[20:21]
	v_add_f64 v[34:35], v[20:21], -v[26:27]
	v_add_f64 v[36:37], v[22:23], -v[28:29]
	;; [unrolled: 1-line block ×3, first 2 shown]
	v_fma_f64 v[14:15], v[14:15], -0.5, v[12:13]
	v_fma_f64 v[30:31], v[30:31], -0.5, v[12:13]
	v_add_f64 v[12:13], v[12:13], v[38:39]
	v_add_f64 v[64:65], v[24:25], -v[6:7]
	v_add_f64 v[56:57], v[56:57], -v[6:7]
	v_fma_f64 v[48:49], v[48:49], -0.5, v[16:17]
	v_fma_f64 v[52:53], v[52:53], -0.5, v[16:17]
	v_add_f64 v[16:17], v[16:17], v[0:1]
	v_add_f64 v[74:75], v[2:3], -v[24:25]
	v_add_f64 v[105:106], v[0:1], -v[4:5]
	;; [unrolled: 1-line block ×3, first 2 shown]
	v_add_f64 v[2:3], v[18:19], v[2:3]
	v_fma_f64 v[32:33], v[32:33], -0.5, v[76:77]
	v_add_f64 v[0:1], v[4:5], -v[0:1]
	v_add_f64 v[109:110], v[8:9], -v[10:11]
	v_add_f64 v[38:39], v[40:41], v[44:45]
	v_fma_f64 v[18:19], v[60:61], -0.5, v[76:77]
	v_fma_f64 v[40:41], v[72:73], -0.5, v[78:79]
	;; [unrolled: 1-line block ×3, first 2 shown]
	v_add_f64 v[60:61], v[88:89], v[90:91]
	v_add_f64 v[72:73], v[92:93], v[94:95]
	v_add_f64 v[80:81], v[20:21], -v[22:23]
	v_fma_f64 v[100:101], v[54:55], s[6:7], v[14:15]
	v_fma_f64 v[102:103], v[58:59], s[12:13], v[30:31]
	v_fma_f64 v[30:31], v[58:59], s[6:7], v[30:31]
	v_fma_f64 v[14:15], v[54:55], s[12:13], v[14:15]
	v_add_f64 v[20:21], v[22:23], -v[20:21]
	v_fma_f64 v[76:77], v[86:87], s[12:13], v[48:49]
	v_fma_f64 v[78:79], v[96:97], s[6:7], v[52:53]
	;; [unrolled: 1-line block ×4, first 2 shown]
	v_add_f64 v[22:23], v[66:67], v[22:23]
	v_add_f64 v[4:5], v[16:17], v[4:5]
	;; [unrolled: 1-line block ×3, first 2 shown]
	v_add_f64 v[82:83], v[26:27], -v[28:29]
	v_add_f64 v[16:17], v[105:106], v[107:108]
	v_fma_f64 v[42:43], v[34:35], s[12:13], v[32:33]
	v_fma_f64 v[32:33], v[34:35], s[6:7], v[32:33]
	v_add_f64 v[98:99], v[28:29], -v[26:27]
	v_add_f64 v[0:1], v[0:1], v[109:110]
	v_add_f64 v[2:3], v[2:3], v[24:25]
	v_fma_f64 v[84:85], v[58:59], s[10:11], v[100:101]
	v_fma_f64 v[88:89], v[54:55], s[10:11], v[102:103]
	;; [unrolled: 1-line block ×4, first 2 shown]
	v_add_f64 v[54:55], v[62:63], v[64:65]
	v_fma_f64 v[58:59], v[36:37], s[6:7], v[18:19]
	v_fma_f64 v[18:19], v[36:37], s[12:13], v[18:19]
	;; [unrolled: 1-line block ×10, first 2 shown]
	v_add_f64 v[22:23], v[22:23], v[28:29]
	v_add_f64 v[4:5], v[4:5], v[8:9]
	;; [unrolled: 1-line block ×3, first 2 shown]
	v_fma_f64 v[12:13], v[36:37], s[14:15], v[42:43]
	v_fma_f64 v[24:25], v[36:37], s[10:11], v[32:33]
	v_add_f64 v[20:21], v[20:21], v[98:99]
	v_add_f64 v[6:7], v[2:3], v[6:7]
	v_fma_f64 v[78:79], v[60:61], s[4:5], v[84:85]
	v_fma_f64 v[84:85], v[72:73], s[4:5], v[88:89]
	;; [unrolled: 1-line block ×4, first 2 shown]
	v_add_f64 v[60:61], v[80:81], v[82:83]
	v_fma_f64 v[28:29], v[34:35], s[14:15], v[58:59]
	v_fma_f64 v[18:19], v[34:35], s[10:11], v[18:19]
	;; [unrolled: 1-line block ×10, first 2 shown]
	v_add_f64 v[22:23], v[22:23], v[26:27]
	v_add_f64 v[4:5], v[4:5], v[10:11]
	;; [unrolled: 1-line block ×3, first 2 shown]
	v_fma_f64 v[26:27], v[38:39], s[4:5], v[12:13]
	v_fma_f64 v[38:39], v[38:39], s[4:5], v[24:25]
	v_mul_f64 v[46:47], v[78:79], s[14:15]
	v_mul_f64 v[58:59], v[78:79], s[16:17]
	;; [unrolled: 1-line block ×8, first 2 shown]
	v_fma_f64 v[28:29], v[54:55], s[4:5], v[28:29]
	v_fma_f64 v[50:51], v[54:55], s[4:5], v[18:19]
	;; [unrolled: 1-line block ×6, first 2 shown]
	v_add_f64 v[2:3], v[22:23], v[8:9]
	v_fma_f64 v[24:25], v[42:43], s[16:17], v[46:47]
	v_fma_f64 v[42:43], v[42:43], s[10:11], v[58:59]
	;; [unrolled: 1-line block ×8, first 2 shown]
	v_add_f64 v[0:1], v[6:7], v[4:5]
	v_add_f64 v[4:5], v[6:7], -v[4:5]
	v_add_f64 v[6:7], v[22:23], -v[8:9]
	s_addc_u32 s4, s9, 0
	s_mov_b32 s5, exec_lo
	v_add_f64 v[8:9], v[26:27], v[24:25]
	v_add_f64 v[10:11], v[54:55], v[42:43]
	;; [unrolled: 1-line block ×8, first 2 shown]
	v_add_f64 v[24:25], v[26:27], -v[24:25]
	v_add_f64 v[26:27], v[54:55], -v[42:43]
	;; [unrolled: 1-line block ×8, first 2 shown]
	ds_write_b128 v104, v[0:3]
	ds_write_b128 v104, v[4:7] offset:13600
	ds_write_b128 v104, v[8:11] offset:2720
	;; [unrolled: 1-line block ×9, first 2 shown]
	s_waitcnt lgkmcnt(0)
	s_barrier
	buffer_gl0_inv
	ds_read_b128 v[4:7], v104
	v_lshlrev_b32_e32 v0, 4, v68
                                        ; implicit-def: $vgpr8_vgpr9
                                        ; implicit-def: $vgpr10_vgpr11
	v_sub_nc_u32_e32 v12, 0, v0
                                        ; implicit-def: $vgpr0_vgpr1
	v_cmpx_ne_u32_e32 0, v68
	s_xor_b32 s5, exec_lo, s5
	s_cbranch_execz .LBB0_15
; %bb.14:
	v_lshlrev_b64 v[0:1], 4, v[68:69]
	v_add_co_u32 v0, s0, s1, v0
	v_add_co_ci_u32_e64 v1, s0, s4, v1, s0
	global_load_dwordx4 v[13:16], v[0:1], off
	ds_read_b128 v[0:3], v12 offset:27200
	s_waitcnt lgkmcnt(0)
	v_add_f64 v[8:9], v[4:5], -v[0:1]
	v_add_f64 v[10:11], v[6:7], v[2:3]
	v_add_f64 v[2:3], v[6:7], -v[2:3]
	v_add_f64 v[0:1], v[4:5], v[0:1]
	v_mul_f64 v[6:7], v[8:9], 0.5
	v_mul_f64 v[4:5], v[10:11], 0.5
	v_mul_f64 v[2:3], v[2:3], 0.5
	s_waitcnt vmcnt(0)
	v_mul_f64 v[8:9], v[6:7], v[15:16]
	v_fma_f64 v[10:11], v[4:5], v[15:16], v[2:3]
	v_fma_f64 v[2:3], v[4:5], v[15:16], -v[2:3]
	v_fma_f64 v[17:18], v[0:1], 0.5, v[8:9]
	v_fma_f64 v[0:1], v[0:1], 0.5, -v[8:9]
	v_fma_f64 v[10:11], -v[13:14], v[6:7], v[10:11]
	v_fma_f64 v[2:3], -v[13:14], v[6:7], v[2:3]
	v_fma_f64 v[8:9], v[4:5], v[13:14], v[17:18]
	v_fma_f64 v[0:1], -v[4:5], v[13:14], v[0:1]
                                        ; implicit-def: $vgpr4_vgpr5
.LBB0_15:
	s_andn2_saveexec_b32 s0, s5
	s_cbranch_execz .LBB0_17
; %bb.16:
	v_mov_b32_e32 v15, 0
	s_waitcnt lgkmcnt(0)
	v_add_f64 v[8:9], v[4:5], v[6:7]
	v_add_f64 v[0:1], v[4:5], -v[6:7]
	v_mov_b32_e32 v10, 0
	v_mov_b32_e32 v11, 0
	ds_read_b64 v[13:14], v15 offset:13608
	v_mov_b32_e32 v2, v10
	v_mov_b32_e32 v3, v11
	s_waitcnt lgkmcnt(0)
	v_xor_b32_e32 v14, 0x80000000, v14
	ds_write_b64 v15, v[13:14] offset:13608
.LBB0_17:
	s_or_b32 exec_lo, exec_lo, s0
	s_waitcnt lgkmcnt(0)
	v_add_nc_u32_e32 v4, 0xaa, v68
	v_mov_b32_e32 v5, 0
	ds_write2_b64 v104, v[8:9], v[10:11] offset1:1
	ds_write_b128 v12, v[0:3] offset:27200
	v_lshlrev_b64 v[6:7], 4, v[4:5]
	v_add_nc_u32_e32 v4, 0x154, v68
	v_add_co_u32 v6, s0, s1, v6
	v_add_co_ci_u32_e64 v7, s0, s4, v7, s0
	global_load_dwordx4 v[13:16], v[6:7], off
	v_lshlrev_b64 v[6:7], 4, v[4:5]
	v_add_nc_u32_e32 v4, 0x1fe, v68
	v_lshlrev_b64 v[10:11], 4, v[4:5]
	v_add_co_u32 v6, s0, s1, v6
	v_add_co_ci_u32_e64 v7, s0, s4, v7, s0
	v_add_nc_u32_e32 v4, 0x2a8, v68
	v_add_co_u32 v10, s0, s1, v10
	global_load_dwordx4 v[17:20], v[6:7], off
	ds_read_b128 v[0:3], v104 offset:2720
	ds_read_b128 v[6:9], v12 offset:24480
	v_add_co_ci_u32_e64 v11, s0, s4, v11, s0
	global_load_dwordx4 v[21:24], v[10:11], off
	s_waitcnt lgkmcnt(0)
	v_add_f64 v[10:11], v[0:1], -v[6:7]
	v_add_f64 v[25:26], v[2:3], v[8:9]
	v_add_f64 v[2:3], v[2:3], -v[8:9]
	v_add_f64 v[0:1], v[0:1], v[6:7]
	v_mul_f64 v[8:9], v[10:11], 0.5
	v_mul_f64 v[10:11], v[25:26], 0.5
	;; [unrolled: 1-line block ×3, first 2 shown]
	s_waitcnt vmcnt(2)
	v_mul_f64 v[6:7], v[8:9], v[15:16]
	v_fma_f64 v[25:26], v[10:11], v[15:16], v[2:3]
	v_fma_f64 v[2:3], v[10:11], v[15:16], -v[2:3]
	v_fma_f64 v[15:16], v[0:1], 0.5, v[6:7]
	v_fma_f64 v[0:1], v[0:1], 0.5, -v[6:7]
	v_fma_f64 v[6:7], -v[13:14], v[8:9], v[25:26]
	v_fma_f64 v[2:3], -v[13:14], v[8:9], v[2:3]
	v_fma_f64 v[8:9], v[10:11], v[13:14], v[15:16]
	v_fma_f64 v[0:1], -v[10:11], v[13:14], v[0:1]
	v_lshlrev_b64 v[10:11], 4, v[4:5]
	v_add_nc_u32_e32 v13, 0x800, v104
	v_add_nc_u32_e32 v4, 0x1000, v104
	ds_write2_b64 v13, v[8:9], v[6:7] offset0:84 offset1:85
	ds_write_b128 v12, v[0:3] offset:24480
	v_add_co_u32 v10, s0, s1, v10
	ds_read_b128 v[0:3], v104 offset:5440
	ds_read_b128 v[6:9], v12 offset:21760
	v_add_co_ci_u32_e64 v11, s0, s4, v11, s0
	global_load_dwordx4 v[13:16], v[10:11], off
	s_waitcnt lgkmcnt(0)
	v_add_f64 v[10:11], v[0:1], -v[6:7]
	v_add_f64 v[25:26], v[2:3], v[8:9]
	v_add_f64 v[2:3], v[2:3], -v[8:9]
	v_add_f64 v[0:1], v[0:1], v[6:7]
	v_mul_f64 v[8:9], v[10:11], 0.5
	v_mul_f64 v[10:11], v[25:26], 0.5
	;; [unrolled: 1-line block ×3, first 2 shown]
	s_waitcnt vmcnt(2)
	v_mul_f64 v[6:7], v[8:9], v[19:20]
	v_fma_f64 v[25:26], v[10:11], v[19:20], v[2:3]
	v_fma_f64 v[2:3], v[10:11], v[19:20], -v[2:3]
	v_fma_f64 v[19:20], v[0:1], 0.5, v[6:7]
	v_fma_f64 v[0:1], v[0:1], 0.5, -v[6:7]
	v_fma_f64 v[6:7], -v[17:18], v[8:9], v[25:26]
	v_fma_f64 v[2:3], -v[17:18], v[8:9], v[2:3]
	v_fma_f64 v[8:9], v[10:11], v[17:18], v[19:20]
	v_fma_f64 v[0:1], -v[10:11], v[17:18], v[0:1]
	ds_write2_b64 v4, v[8:9], v[6:7] offset0:168 offset1:169
	ds_write_b128 v12, v[0:3] offset:21760
	ds_read_b128 v[0:3], v104 offset:8160
	ds_read_b128 v[6:9], v12 offset:19040
	v_add_nc_u32_e32 v4, 0x1800, v104
	s_waitcnt lgkmcnt(0)
	v_add_f64 v[10:11], v[0:1], -v[6:7]
	v_add_f64 v[17:18], v[2:3], v[8:9]
	v_add_f64 v[2:3], v[2:3], -v[8:9]
	v_add_f64 v[0:1], v[0:1], v[6:7]
	v_mul_f64 v[8:9], v[10:11], 0.5
	v_mul_f64 v[10:11], v[17:18], 0.5
	;; [unrolled: 1-line block ×3, first 2 shown]
	s_waitcnt vmcnt(1)
	v_mul_f64 v[6:7], v[8:9], v[23:24]
	v_fma_f64 v[17:18], v[10:11], v[23:24], v[2:3]
	v_fma_f64 v[2:3], v[10:11], v[23:24], -v[2:3]
	v_fma_f64 v[19:20], v[0:1], 0.5, v[6:7]
	v_fma_f64 v[0:1], v[0:1], 0.5, -v[6:7]
	v_fma_f64 v[6:7], -v[21:22], v[8:9], v[17:18]
	v_fma_f64 v[2:3], -v[21:22], v[8:9], v[2:3]
	v_fma_f64 v[8:9], v[10:11], v[21:22], v[19:20]
	v_fma_f64 v[0:1], -v[10:11], v[21:22], v[0:1]
	ds_write2_b64 v4, v[8:9], v[6:7] offset0:252 offset1:253
	ds_write_b128 v12, v[0:3] offset:19040
	ds_read_b128 v[0:3], v104 offset:10880
	ds_read_b128 v[6:9], v12 offset:16320
	v_add_nc_u32_e32 v4, 0x2800, v104
	s_waitcnt lgkmcnt(0)
	v_add_f64 v[10:11], v[0:1], -v[6:7]
	v_add_f64 v[17:18], v[2:3], v[8:9]
	v_add_f64 v[2:3], v[2:3], -v[8:9]
	v_add_f64 v[0:1], v[0:1], v[6:7]
	v_mul_f64 v[8:9], v[10:11], 0.5
	v_mul_f64 v[10:11], v[17:18], 0.5
	;; [unrolled: 1-line block ×3, first 2 shown]
	s_waitcnt vmcnt(0)
	v_mul_f64 v[6:7], v[8:9], v[15:16]
	v_fma_f64 v[17:18], v[10:11], v[15:16], v[2:3]
	v_fma_f64 v[2:3], v[10:11], v[15:16], -v[2:3]
	v_fma_f64 v[15:16], v[0:1], 0.5, v[6:7]
	v_fma_f64 v[0:1], v[0:1], 0.5, -v[6:7]
	v_fma_f64 v[6:7], -v[13:14], v[8:9], v[17:18]
	v_fma_f64 v[2:3], -v[13:14], v[8:9], v[2:3]
	v_fma_f64 v[8:9], v[10:11], v[13:14], v[15:16]
	v_fma_f64 v[0:1], -v[10:11], v[13:14], v[0:1]
	ds_write2_b64 v4, v[8:9], v[6:7] offset0:80 offset1:81
	ds_write_b128 v12, v[0:3] offset:16320
	s_waitcnt lgkmcnt(0)
	s_barrier
	buffer_gl0_inv
	s_and_saveexec_b32 s0, vcc_lo
	s_cbranch_execz .LBB0_20
; %bb.18:
	v_mov_b32_e32 v69, v5
	ds_read_b128 v[2:5], v104
	v_add_co_u32 v0, vcc_lo, s2, v70
	v_add_co_ci_u32_e32 v1, vcc_lo, s3, v71, vcc_lo
	v_lshlrev_b64 v[18:19], 4, v[68:69]
	ds_read_b128 v[6:9], v104 offset:2720
	ds_read_b128 v[10:13], v104 offset:5440
	;; [unrolled: 1-line block ×3, first 2 shown]
	v_add_co_u32 v26, vcc_lo, v0, v18
	v_add_co_ci_u32_e32 v27, vcc_lo, v1, v19, vcc_lo
	ds_read_b128 v[18:21], v104 offset:10880
	ds_read_b128 v[22:25], v104 offset:13600
	v_add_co_u32 v28, vcc_lo, 0x800, v26
	v_add_co_ci_u32_e32 v29, vcc_lo, 0, v27, vcc_lo
	s_waitcnt lgkmcnt(5)
	global_store_dwordx4 v[26:27], v[2:5], off
	v_add_co_u32 v2, vcc_lo, 0x1000, v26
	v_add_co_ci_u32_e32 v3, vcc_lo, 0, v27, vcc_lo
	v_add_co_u32 v4, vcc_lo, 0x1800, v26
	v_add_co_ci_u32_e32 v5, vcc_lo, 0, v27, vcc_lo
	;; [unrolled: 2-line block ×4, first 2 shown]
	s_waitcnt lgkmcnt(4)
	global_store_dwordx4 v[28:29], v[6:9], off offset:672
	s_waitcnt lgkmcnt(3)
	global_store_dwordx4 v[2:3], v[10:13], off offset:1344
	;; [unrolled: 2-line block ×5, first 2 shown]
	ds_read_b128 v[2:5], v104 offset:16320
	ds_read_b128 v[6:9], v104 offset:19040
	;; [unrolled: 1-line block ×4, first 2 shown]
	v_add_co_u32 v18, vcc_lo, 0x3800, v26
	v_add_co_ci_u32_e32 v19, vcc_lo, 0, v27, vcc_lo
	v_add_co_u32 v20, vcc_lo, 0x4800, v26
	v_add_co_ci_u32_e32 v21, vcc_lo, 0, v27, vcc_lo
	;; [unrolled: 2-line block ×4, first 2 shown]
	v_cmp_eq_u32_e32 vcc_lo, 0xa9, v68
	s_waitcnt lgkmcnt(3)
	global_store_dwordx4 v[18:19], v[2:5], off offset:1984
	s_waitcnt lgkmcnt(2)
	global_store_dwordx4 v[20:21], v[6:9], off offset:608
	;; [unrolled: 2-line block ×4, first 2 shown]
	s_and_b32 exec_lo, exec_lo, vcc_lo
	s_cbranch_execz .LBB0_20
; %bb.19:
	v_mov_b32_e32 v2, 0
	v_add_co_u32 v0, vcc_lo, 0x6800, v0
	v_add_co_ci_u32_e32 v1, vcc_lo, 0, v1, vcc_lo
	ds_read_b128 v[2:5], v2 offset:27200
	s_waitcnt lgkmcnt(0)
	global_store_dwordx4 v[0:1], v[2:5], off offset:576
.LBB0_20:
	s_endpgm
	.section	.rodata,"a",@progbits
	.p2align	6, 0x0
	.amdhsa_kernel fft_rtc_back_len1700_factors_17_10_10_wgs_170_tpt_170_halfLds_dp_ip_CI_unitstride_sbrr_R2C_dirReg
		.amdhsa_group_segment_fixed_size 0
		.amdhsa_private_segment_fixed_size 0
		.amdhsa_kernarg_size 88
		.amdhsa_user_sgpr_count 6
		.amdhsa_user_sgpr_private_segment_buffer 1
		.amdhsa_user_sgpr_dispatch_ptr 0
		.amdhsa_user_sgpr_queue_ptr 0
		.amdhsa_user_sgpr_kernarg_segment_ptr 1
		.amdhsa_user_sgpr_dispatch_id 0
		.amdhsa_user_sgpr_flat_scratch_init 0
		.amdhsa_user_sgpr_private_segment_size 0
		.amdhsa_wavefront_size32 1
		.amdhsa_uses_dynamic_stack 0
		.amdhsa_system_sgpr_private_segment_wavefront_offset 0
		.amdhsa_system_sgpr_workgroup_id_x 1
		.amdhsa_system_sgpr_workgroup_id_y 0
		.amdhsa_system_sgpr_workgroup_id_z 0
		.amdhsa_system_sgpr_workgroup_info 0
		.amdhsa_system_vgpr_workitem_id 0
		.amdhsa_next_free_vgpr 163
		.amdhsa_next_free_sgpr 52
		.amdhsa_reserve_vcc 1
		.amdhsa_reserve_flat_scratch 0
		.amdhsa_float_round_mode_32 0
		.amdhsa_float_round_mode_16_64 0
		.amdhsa_float_denorm_mode_32 3
		.amdhsa_float_denorm_mode_16_64 3
		.amdhsa_dx10_clamp 1
		.amdhsa_ieee_mode 1
		.amdhsa_fp16_overflow 0
		.amdhsa_workgroup_processor_mode 1
		.amdhsa_memory_ordered 1
		.amdhsa_forward_progress 0
		.amdhsa_shared_vgpr_count 0
		.amdhsa_exception_fp_ieee_invalid_op 0
		.amdhsa_exception_fp_denorm_src 0
		.amdhsa_exception_fp_ieee_div_zero 0
		.amdhsa_exception_fp_ieee_overflow 0
		.amdhsa_exception_fp_ieee_underflow 0
		.amdhsa_exception_fp_ieee_inexact 0
		.amdhsa_exception_int_div_zero 0
	.end_amdhsa_kernel
	.text
.Lfunc_end0:
	.size	fft_rtc_back_len1700_factors_17_10_10_wgs_170_tpt_170_halfLds_dp_ip_CI_unitstride_sbrr_R2C_dirReg, .Lfunc_end0-fft_rtc_back_len1700_factors_17_10_10_wgs_170_tpt_170_halfLds_dp_ip_CI_unitstride_sbrr_R2C_dirReg
                                        ; -- End function
	.section	.AMDGPU.csdata,"",@progbits
; Kernel info:
; codeLenInByte = 13384
; NumSgprs: 54
; NumVgprs: 163
; ScratchSize: 0
; MemoryBound: 0
; FloatMode: 240
; IeeeMode: 1
; LDSByteSize: 0 bytes/workgroup (compile time only)
; SGPRBlocks: 6
; VGPRBlocks: 20
; NumSGPRsForWavesPerEU: 54
; NumVGPRsForWavesPerEU: 163
; Occupancy: 5
; WaveLimiterHint : 1
; COMPUTE_PGM_RSRC2:SCRATCH_EN: 0
; COMPUTE_PGM_RSRC2:USER_SGPR: 6
; COMPUTE_PGM_RSRC2:TRAP_HANDLER: 0
; COMPUTE_PGM_RSRC2:TGID_X_EN: 1
; COMPUTE_PGM_RSRC2:TGID_Y_EN: 0
; COMPUTE_PGM_RSRC2:TGID_Z_EN: 0
; COMPUTE_PGM_RSRC2:TIDIG_COMP_CNT: 0
	.text
	.p2alignl 6, 3214868480
	.fill 48, 4, 3214868480
	.type	__hip_cuid_69497309b3481b60,@object ; @__hip_cuid_69497309b3481b60
	.section	.bss,"aw",@nobits
	.globl	__hip_cuid_69497309b3481b60
__hip_cuid_69497309b3481b60:
	.byte	0                               ; 0x0
	.size	__hip_cuid_69497309b3481b60, 1

	.ident	"AMD clang version 19.0.0git (https://github.com/RadeonOpenCompute/llvm-project roc-6.4.0 25133 c7fe45cf4b819c5991fe208aaa96edf142730f1d)"
	.section	".note.GNU-stack","",@progbits
	.addrsig
	.addrsig_sym __hip_cuid_69497309b3481b60
	.amdgpu_metadata
---
amdhsa.kernels:
  - .args:
      - .actual_access:  read_only
        .address_space:  global
        .offset:         0
        .size:           8
        .value_kind:     global_buffer
      - .offset:         8
        .size:           8
        .value_kind:     by_value
      - .actual_access:  read_only
        .address_space:  global
        .offset:         16
        .size:           8
        .value_kind:     global_buffer
      - .actual_access:  read_only
        .address_space:  global
        .offset:         24
        .size:           8
        .value_kind:     global_buffer
      - .offset:         32
        .size:           8
        .value_kind:     by_value
      - .actual_access:  read_only
        .address_space:  global
        .offset:         40
        .size:           8
        .value_kind:     global_buffer
      - .actual_access:  read_only
        .address_space:  global
        .offset:         48
        .size:           8
        .value_kind:     global_buffer
      - .offset:         56
        .size:           4
        .value_kind:     by_value
      - .actual_access:  read_only
        .address_space:  global
        .offset:         64
        .size:           8
        .value_kind:     global_buffer
      - .actual_access:  read_only
        .address_space:  global
        .offset:         72
        .size:           8
        .value_kind:     global_buffer
      - .address_space:  global
        .offset:         80
        .size:           8
        .value_kind:     global_buffer
    .group_segment_fixed_size: 0
    .kernarg_segment_align: 8
    .kernarg_segment_size: 88
    .language:       OpenCL C
    .language_version:
      - 2
      - 0
    .max_flat_workgroup_size: 170
    .name:           fft_rtc_back_len1700_factors_17_10_10_wgs_170_tpt_170_halfLds_dp_ip_CI_unitstride_sbrr_R2C_dirReg
    .private_segment_fixed_size: 0
    .sgpr_count:     54
    .sgpr_spill_count: 0
    .symbol:         fft_rtc_back_len1700_factors_17_10_10_wgs_170_tpt_170_halfLds_dp_ip_CI_unitstride_sbrr_R2C_dirReg.kd
    .uniform_work_group_size: 1
    .uses_dynamic_stack: false
    .vgpr_count:     163
    .vgpr_spill_count: 0
    .wavefront_size: 32
    .workgroup_processor_mode: 1
amdhsa.target:   amdgcn-amd-amdhsa--gfx1030
amdhsa.version:
  - 1
  - 2
...

	.end_amdgpu_metadata
